;; amdgpu-corpus repo=ROCm/rocFFT kind=compiled arch=gfx1100 opt=O3
	.text
	.amdgcn_target "amdgcn-amd-amdhsa--gfx1100"
	.amdhsa_code_object_version 6
	.protected	bluestein_single_back_len544_dim1_dp_op_CI_CI ; -- Begin function bluestein_single_back_len544_dim1_dp_op_CI_CI
	.globl	bluestein_single_back_len544_dim1_dp_op_CI_CI
	.p2align	8
	.type	bluestein_single_back_len544_dim1_dp_op_CI_CI,@function
bluestein_single_back_len544_dim1_dp_op_CI_CI: ; @bluestein_single_back_len544_dim1_dp_op_CI_CI
; %bb.0:
	s_load_b128 s[8:11], s[0:1], 0x28
	v_mul_u32_u24_e32 v1, 0x788, v0
	s_mov_b32 s2, exec_lo
	s_delay_alu instid0(VALU_DEP_1) | instskip(NEXT) | instid1(VALU_DEP_1)
	v_lshrrev_b32_e32 v1, 16, v1
	v_mad_u64_u32 v[241:242], null, s15, 3, v[1:2]
	v_mov_b32_e32 v242, 0
                                        ; kill: def $vgpr2 killed $sgpr0 killed $exec
	s_waitcnt lgkmcnt(0)
	s_delay_alu instid0(VALU_DEP_1)
	v_cmpx_gt_u64_e64 s[8:9], v[241:242]
	s_cbranch_execz .LBB0_15
; %bb.1:
	v_mul_hi_u32 v2, 0xaaaaaaab, v241
	v_mul_lo_u16 v1, v1, 34
	s_clause 0x1
	s_load_b64 s[8:9], s[0:1], 0x0
	s_load_b64 s[12:13], s[0:1], 0x38
	s_delay_alu instid0(VALU_DEP_1) | instskip(NEXT) | instid1(VALU_DEP_3)
	v_sub_nc_u16 v0, v0, v1
	v_lshrrev_b32_e32 v1, 1, v2
	s_delay_alu instid0(VALU_DEP_2) | instskip(SKIP_1) | instid1(VALU_DEP_3)
	v_and_b32_e32 v255, 0xffff, v0
	v_cmp_gt_u16_e32 vcc_lo, 32, v0
	v_lshl_add_u32 v1, v1, 1, v1
	s_delay_alu instid0(VALU_DEP_3) | instskip(SKIP_1) | instid1(VALU_DEP_3)
	v_lshlrev_b32_e32 v250, 4, v255
	v_or_b32_e32 v249, 0xe0, v255
	v_sub_nc_u32_e32 v0, v241, v1
	v_or_b32_e32 v254, 0x160, v255
	v_or_b32_e32 v244, 0x180, v255
	;; [unrolled: 1-line block ×3, first 2 shown]
	s_delay_alu instid0(VALU_DEP_4) | instskip(NEXT) | instid1(VALU_DEP_1)
	v_mul_u32_u24_e32 v168, 0x220, v0
	v_or_b32_e32 v0, v168, v255
	s_delay_alu instid0(VALU_DEP_1)
	v_lshlrev_b32_e32 v242, 4, v0
	s_and_saveexec_b32 s3, vcc_lo
	s_cbranch_execz .LBB0_3
; %bb.2:
	s_load_b64 s[4:5], s[0:1], 0x18
	v_or_b32_e32 v31, 32, v255
	v_or_b32_e32 v32, 64, v255
	;; [unrolled: 1-line block ×12, first 2 shown]
	v_lshlrev_b32_e32 v94, 4, v254
	v_lshlrev_b32_e32 v70, 4, v66
	;; [unrolled: 1-line block ×5, first 2 shown]
	s_waitcnt lgkmcnt(0)
	s_load_b128 s[4:7], s[4:5], 0x0
	s_clause 0x2
	global_load_b128 v[0:3], v250, s[8:9]
	global_load_b128 v[4:7], v250, s[8:9] offset:512
	global_load_b128 v[8:11], v250, s[8:9] offset:1024
	s_waitcnt lgkmcnt(0)
	v_mad_u64_u32 v[16:17], null, s4, v31, 0
	v_mad_u64_u32 v[18:19], null, s4, v32, 0
	;; [unrolled: 1-line block ×13, first 2 shown]
	s_delay_alu instid0(VALU_DEP_4) | instskip(NEXT) | instid1(VALU_DEP_4)
	v_dual_mov_b32 v24, v37 :: v_dual_mov_b32 v21, v31
	v_mov_b32_e32 v62, v69
	v_mad_u64_u32 v[38:39], null, s4, v46, 0
	v_mad_u64_u32 v[72:73], null, s4, v89, 0
	v_mov_b32_e32 v15, v26
	v_mad_u64_u32 v[32:33], null, s5, v34, v[23:24]
	v_mad_u64_u32 v[63:64], null, s5, v79, v[62:63]
	v_dual_mov_b32 v28, v39 :: v_dual_mov_b32 v13, v25
	v_mad_u64_u32 v[80:81], null, s4, v254, 0
	s_delay_alu instid0(VALU_DEP_4) | instskip(NEXT) | instid1(VALU_DEP_4)
	v_dual_mov_b32 v23, v32 :: v_dual_mov_b32 v62, v73
	v_mov_b32_e32 v69, v63
	s_delay_alu instid0(VALU_DEP_4)
	v_lshlrev_b64 v[12:13], 4, v[12:13]
	v_mov_b32_e32 v17, v29
	v_mad_u64_u32 v[60:61], null, s4, v66, 0
	v_mad_u64_u32 v[73:74], null, s5, v89, v[62:63]
	v_mov_b32_e32 v74, v81
	v_lshlrev_b64 v[75:76], 4, v[68:69]
	v_lshlrev_b64 v[14:15], 4, v[14:15]
	v_dual_mov_b32 v19, v30 :: v_dual_mov_b32 v48, v61
	v_add_co_u32 v122, s2, s10, v12
	v_lshlrev_b64 v[16:17], 4, v[16:17]
	v_add_co_ci_u32_e64 v123, s2, s11, v13, s2
	v_mad_u64_u32 v[77:78], null, s5, v254, v[74:75]
	v_mad_u64_u32 v[104:105], null, s4, v243, 0
	v_lshlrev_b64 v[18:19], 4, v[18:19]
	v_add_co_u32 v14, s2, v122, v14
	s_delay_alu instid0(VALU_DEP_1)
	v_add_co_ci_u32_e64 v15, s2, v123, v15, s2
	v_lshlrev_b64 v[12:13], 4, v[20:21]
	v_add_co_u32 v16, s2, v122, v16
	v_lshlrev_b64 v[29:30], 4, v[22:23]
	v_mad_u64_u32 v[106:107], null, s4, v120, 0
	v_mad_u64_u32 v[44:45], null, s4, v249, 0
	;; [unrolled: 1-line block ×3, first 2 shown]
	v_add_co_ci_u32_e64 v17, s2, v123, v17, s2
	v_mad_u64_u32 v[33:34], null, s5, v35, v[24:25]
	v_add_co_u32 v18, s2, v122, v18
	v_mov_b32_e32 v81, v77
	v_mov_b32_e32 v98, v105
	v_add_co_ci_u32_e64 v19, s2, v123, v19, s2
	v_add_co_u32 v12, s2, v122, v12
	v_mad_u64_u32 v[42:43], null, s5, v46, v[28:29]
	v_add_co_ci_u32_e64 v13, s2, v123, v13, s2
	v_mad_u64_u32 v[99:100], null, s5, v243, v[98:99]
	v_mov_b32_e32 v98, v107
	v_lshlrev_b64 v[85:86], 4, v[80:81]
	v_add_co_u32 v40, s2, v122, v29
	v_mov_b32_e32 v39, v45
	v_mov_b32_e32 v84, v93
	;; [unrolled: 1-line block ×3, first 2 shown]
	v_mad_u64_u32 v[49:50], null, s5, v66, v[48:49]
	v_mad_u64_u32 v[108:109], null, s4, v124, 0
	s_delay_alu instid0(VALU_DEP_4)
	v_mad_u64_u32 v[87:88], null, s5, v244, v[84:85]
	v_lshlrev_b32_e32 v84, 4, v89
	v_mad_u64_u32 v[45:46], null, s5, v249, v[39:40]
	v_mov_b32_e32 v39, v42
	v_lshlrev_b64 v[36:37], 4, v[36:37]
	v_dual_mov_b32 v61, v49 :: v_dual_lshlrev_b32 v100, 4, v244
	v_mad_u64_u32 v[110:111], null, s5, v120, v[98:99]
	s_delay_alu instid0(VALU_DEP_4)
	v_lshlrev_b64 v[46:47], 4, v[38:39]
	v_add_co_ci_u32_e64 v41, s2, v123, v30, s2
	v_add_co_u32 v42, s2, v122, v36
	v_lshlrev_b64 v[44:45], 4, v[44:45]
	v_mad_u64_u32 v[116:117], null, s4, v125, 0
	v_add_co_ci_u32_e64 v43, s2, v123, v37, s2
	v_add_co_u32 v52, s2, v122, v46
	v_lshlrev_b64 v[60:61], 4, v[60:61]
	v_add_co_ci_u32_e64 v53, s2, v123, v47, s2
	v_add_co_u32 v56, s2, v122, v44
	v_mov_b32_e32 v107, v110
	v_mad_u64_u32 v[110:111], null, s5, v124, v[109:110]
	v_add_co_ci_u32_e64 v57, s2, v123, v45, s2
	v_add_co_u32 v64, s2, v122, v60
	v_lshlrev_b64 v[72:73], 4, v[72:73]
	v_mov_b32_e32 v109, v117
	v_mov_b32_e32 v93, v87
	v_add_co_ci_u32_e64 v65, s2, v123, v61, s2
	v_add_co_u32 v74, s2, v122, v75
	v_mov_b32_e32 v105, v99
	v_add_co_ci_u32_e64 v75, s2, v123, v76, s2
	v_mad_u64_u32 v[111:112], null, s5, v125, v[109:110]
	v_add_co_u32 v82, s2, v122, v72
	v_lshlrev_b64 v[96:97], 4, v[92:93]
	v_add_co_ci_u32_e64 v83, s2, v123, v73, s2
	v_add_co_u32 v88, s2, v122, v85
	v_lshlrev_b64 v[104:105], 4, v[104:105]
	v_dual_mov_b32 v109, v110 :: v_dual_lshlrev_b32 v124, 4, v124
	v_add_co_ci_u32_e64 v89, s2, v123, v86, s2
	v_add_co_u32 v96, s2, v122, v96
	v_lshlrev_b64 v[106:107], 4, v[106:107]
	v_mov_b32_e32 v117, v111
	s_clause 0x3
	global_load_b128 v[24:27], v[14:15], off
	global_load_b128 v[20:23], v[16:17], off
	global_load_b128 v[16:19], v[18:19], off
	global_load_b128 v[12:15], v[12:13], off
	v_add_co_ci_u32_e64 v97, s2, v123, v97, s2
	s_clause 0x1
	global_load_b128 v[32:35], v250, s[8:9] offset:1536
	global_load_b128 v[28:31], v250, s[8:9] offset:2048
	v_lshlrev_b32_e32 v76, 4, v79
	v_add_co_u32 v104, s2, v122, v104
	v_lshlrev_b64 v[118:119], 4, v[108:109]
	s_clause 0x1
	global_load_b128 v[36:39], v[40:41], off
	global_load_b128 v[40:43], v[42:43], off
	s_clause 0x1
	global_load_b128 v[44:47], v250, s[8:9] offset:2560
	global_load_b128 v[48:51], v250, s[8:9] offset:3072
	v_add_co_ci_u32_e64 v105, s2, v123, v105, s2
	s_clause 0x1
	global_load_b128 v[52:55], v[52:53], off
	global_load_b128 v[56:59], v[56:57], off
	v_add_co_u32 v112, s2, v122, v106
	v_lshlrev_b64 v[116:117], 4, v[116:117]
	global_load_b128 v[60:63], v250, s[8:9] offset:3584
	global_load_b128 v[64:67], v[64:65], off
	s_clause 0x1
	global_load_b128 v[68:71], v70, s[8:9]
	global_load_b128 v[76:79], v76, s[8:9]
	s_clause 0x1
	global_load_b128 v[72:75], v[74:75], off
	global_load_b128 v[80:83], v[82:83], off
	v_add_co_ci_u32_e64 v113, s2, v123, v107, s2
	v_add_co_u32 v120, s2, v122, v118
	global_load_b128 v[84:87], v84, s[8:9]
	global_load_b128 v[88:91], v[88:89], off
	global_load_b128 v[92:95], v94, s[8:9]
	global_load_b128 v[96:99], v[96:97], off
	global_load_b128 v[100:103], v100, s[8:9]
	v_add_co_ci_u32_e64 v121, s2, v123, v119, s2
	global_load_b128 v[104:107], v[104:105], off
	v_add_co_u32 v132, s2, v122, v116
	global_load_b128 v[108:111], v114, s[8:9]
	global_load_b128 v[112:115], v[112:113], off
	v_add_co_ci_u32_e64 v133, s2, v123, v117, s2
	global_load_b128 v[116:119], v126, s[8:9]
	global_load_b128 v[120:123], v[120:121], off
	s_clause 0x1
	global_load_b128 v[124:127], v124, s[8:9]
	global_load_b128 v[128:131], v128, s[8:9]
	global_load_b128 v[132:135], v[132:133], off
	s_waitcnt vmcnt(30)
	v_mul_f64 v[136:137], v[26:27], v[2:3]
	v_mul_f64 v[2:3], v[24:25], v[2:3]
	s_waitcnt vmcnt(29)
	v_mul_f64 v[138:139], v[22:23], v[6:7]
	v_mul_f64 v[6:7], v[20:21], v[6:7]
	;; [unrolled: 3-line block ×17, first 2 shown]
	v_fma_f64 v[24:25], v[24:25], v[0:1], v[136:137]
	v_fma_f64 v[26:27], v[26:27], v[0:1], -v[2:3]
	v_fma_f64 v[0:1], v[20:21], v[4:5], v[138:139]
	v_fma_f64 v[2:3], v[22:23], v[4:5], -v[6:7]
	;; [unrolled: 2-line block ×10, first 2 shown]
	v_lshl_add_u32 v68, v168, 4, v250
	v_fma_f64 v[40:41], v[80:81], v[84:85], v[156:157]
	v_fma_f64 v[42:43], v[82:83], v[84:85], -v[86:87]
	v_fma_f64 v[44:45], v[88:89], v[92:93], v[158:159]
	v_fma_f64 v[46:47], v[90:91], v[92:93], -v[94:95]
	;; [unrolled: 2-line block ×7, first 2 shown]
	ds_store_b128 v242, v[24:27]
	ds_store_b128 v68, v[0:3] offset:512
	ds_store_b128 v68, v[4:7] offset:1024
	;; [unrolled: 1-line block ×16, first 2 shown]
.LBB0_3:
	s_or_b32 exec_lo, exec_lo, s3
	s_clause 0x1
	s_load_b64 s[4:5], s[0:1], 0x20
	s_load_b64 s[2:3], s[0:1], 0x8
	v_lshlrev_b32_e32 v253, 4, v168
	s_waitcnt lgkmcnt(0)
	s_barrier
	buffer_gl0_inv
                                        ; implicit-def: $vgpr4_vgpr5
                                        ; implicit-def: $vgpr48_vgpr49
                                        ; implicit-def: $vgpr36_vgpr37
                                        ; implicit-def: $vgpr12_vgpr13
                                        ; implicit-def: $vgpr8_vgpr9
                                        ; implicit-def: $vgpr16_vgpr17
                                        ; implicit-def: $vgpr20_vgpr21
                                        ; implicit-def: $vgpr24_vgpr25
                                        ; implicit-def: $vgpr28_vgpr29
                                        ; implicit-def: $vgpr32_vgpr33
                                        ; implicit-def: $vgpr40_vgpr41
                                        ; implicit-def: $vgpr44_vgpr45
                                        ; implicit-def: $vgpr52_vgpr53
                                        ; implicit-def: $vgpr56_vgpr57
                                        ; implicit-def: $vgpr60_vgpr61
                                        ; implicit-def: $vgpr64_vgpr65
                                        ; implicit-def: $vgpr68_vgpr69
	s_and_saveexec_b32 s0, vcc_lo
	s_cbranch_execz .LBB0_5
; %bb.4:
	v_lshl_add_u32 v0, v255, 4, v253
	ds_load_b128 v[4:7], v242
	ds_load_b128 v[68:71], v0 offset:512
	ds_load_b128 v[64:67], v0 offset:1024
	;; [unrolled: 1-line block ×16, first 2 shown]
.LBB0_5:
	s_or_b32 exec_lo, exec_lo, s0
	s_waitcnt lgkmcnt(0)
	v_add_f64 v[158:159], v[70:71], -v[10:11]
	v_add_f64 v[162:163], v[68:69], -v[8:9]
	s_mov_b32 s0, 0x5d8e7cdc
	s_mov_b32 s1, 0xbfd71e95
	v_add_f64 v[152:153], v[8:9], v[68:69]
	v_add_f64 v[164:165], v[10:11], v[70:71]
	v_add_f64 v[98:99], v[66:67], -v[14:15]
	v_add_f64 v[72:73], v[64:65], -v[12:13]
	s_mov_b32 s6, 0x370991
	s_mov_b32 s14, 0x2a9d6da3
	s_mov_b32 s7, 0x3fedd6d0
	s_mov_b32 s15, 0xbfe58eea
	v_add_f64 v[74:75], v[12:13], v[64:65]
	v_add_f64 v[102:103], v[14:15], v[66:67]
	v_add_f64 v[104:105], v[62:63], -v[18:19]
	v_add_f64 v[76:77], v[60:61], -v[16:17]
	s_mov_b32 s18, 0x75d4884
	s_mov_b32 s10, 0x7c9e640b
	;; [unrolled: 8-line block ×4, first 2 shown]
	s_mov_b32 s23, 0x3fb79ee6
	s_mov_b32 s21, 0xbfeec746
	v_add_f64 v[114:115], v[26:27], v[54:55]
	v_add_f64 v[116:117], v[50:51], -v[30:31]
	v_mul_f64 v[160:161], v[158:159], s[0:1]
	v_mul_f64 v[166:167], v[162:163], s[0:1]
	s_mov_b32 s24, 0xc61f0d01
	s_mov_b32 s34, 0x6c9a05f6
	;; [unrolled: 1-line block ×4, first 2 shown]
	v_mul_f64 v[128:129], v[98:99], s[14:15]
	v_mul_f64 v[130:131], v[72:73], s[14:15]
	v_add_f64 v[118:119], v[50:51], v[30:31]
	v_add_f64 v[120:121], v[46:47], -v[34:35]
	s_mov_b32 s30, 0x6ed5f1bb
	s_mov_b32 s28, 0x4363dd80
	;; [unrolled: 1-line block ×4, first 2 shown]
	v_mul_f64 v[132:133], v[104:105], s[10:11]
	v_mul_f64 v[134:135], v[76:77], s[10:11]
	v_add_f64 v[122:123], v[34:35], v[46:47]
	v_add_f64 v[124:125], v[42:43], -v[38:39]
	s_mov_b32 s36, 0x910ea3b9
	s_mov_b32 s40, 0xacd6c6b4
	;; [unrolled: 1-line block ×4, first 2 shown]
	v_mul_f64 v[138:139], v[80:81], s[26:27]
	v_mul_f64 v[136:137], v[108:109], s[26:27]
	s_mov_b32 s38, 0x7faef3
	s_mov_b32 s39, 0xbfef7484
	s_barrier
	buffer_gl0_inv
	v_mul_f64 v[142:143], v[84:85], s[20:21]
	v_mul_f64 v[140:141], v[112:113], s[20:21]
	;; [unrolled: 1-line block ×3, first 2 shown]
	v_fma_f64 v[0:1], v[152:153], s[6:7], v[160:161]
	v_fma_f64 v[2:3], v[164:165], s[6:7], -v[166:167]
	v_fma_f64 v[86:87], v[74:75], s[18:19], v[128:129]
	v_fma_f64 v[88:89], v[102:103], s[18:19], -v[130:131]
	v_mul_f64 v[148:149], v[120:121], s[28:29]
	v_fma_f64 v[90:91], v[78:79], s[16:17], v[132:133]
	v_fma_f64 v[92:93], v[106:107], s[16:17], -v[134:135]
	v_mul_f64 v[154:155], v[124:125], s[40:41]
	v_fma_f64 v[96:97], v[110:111], s[22:23], -v[138:139]
	v_fma_f64 v[94:95], v[82:83], s[22:23], v[136:137]
	v_fma_f64 v[126:127], v[114:115], s[24:25], -v[142:143]
	v_add_f64 v[0:1], v[4:5], v[0:1]
	v_add_f64 v[2:3], v[6:7], v[2:3]
	s_delay_alu instid0(VALU_DEP_2) | instskip(NEXT) | instid1(VALU_DEP_2)
	v_add_f64 v[0:1], v[86:87], v[0:1]
	v_add_f64 v[2:3], v[88:89], v[2:3]
	;; [unrolled: 1-line block ×3, first 2 shown]
	v_add_f64 v[88:89], v[48:49], -v[28:29]
	s_delay_alu instid0(VALU_DEP_4) | instskip(NEXT) | instid1(VALU_DEP_4)
	v_add_f64 v[0:1], v[90:91], v[0:1]
	v_add_f64 v[2:3], v[92:93], v[2:3]
	;; [unrolled: 1-line block ×3, first 2 shown]
	v_add_f64 v[92:93], v[44:45], -v[32:33]
	v_mul_f64 v[146:147], v[88:89], s[34:35]
	v_fma_f64 v[100:101], v[86:87], s[24:25], v[140:141]
	v_add_f64 v[0:1], v[94:95], v[0:1]
	v_add_f64 v[2:3], v[96:97], v[2:3]
	;; [unrolled: 1-line block ×3, first 2 shown]
	v_add_f64 v[96:97], v[40:41], -v[36:37]
	v_mul_f64 v[150:151], v[92:93], s[28:29]
	v_fma_f64 v[169:170], v[90:91], s[30:31], v[144:145]
	v_fma_f64 v[171:172], v[118:119], s[30:31], -v[146:147]
	v_add_f64 v[0:1], v[100:101], v[0:1]
	v_add_f64 v[2:3], v[126:127], v[2:3]
	;; [unrolled: 1-line block ×4, first 2 shown]
	v_mul_f64 v[156:157], v[96:97], s[40:41]
	v_fma_f64 v[173:174], v[94:95], s[36:37], v[148:149]
	v_fma_f64 v[177:178], v[122:123], s[36:37], -v[150:151]
	v_add_f64 v[0:1], v[169:170], v[0:1]
	v_add_f64 v[2:3], v[171:172], v[2:3]
	v_fma_f64 v[169:170], v[100:101], s[38:39], v[154:155]
	v_fma_f64 v[171:172], v[126:127], s[38:39], -v[156:157]
	s_delay_alu instid0(VALU_DEP_4) | instskip(NEXT) | instid1(VALU_DEP_4)
	v_add_f64 v[0:1], v[173:174], v[0:1]
	v_add_f64 v[2:3], v[177:178], v[2:3]
	s_delay_alu instid0(VALU_DEP_2) | instskip(NEXT) | instid1(VALU_DEP_2)
	v_add_f64 v[245:246], v[169:170], v[0:1]
	v_add_f64 v[247:248], v[171:172], v[2:3]
	s_and_saveexec_b32 s33, vcc_lo
	s_cbranch_execz .LBB0_7
; %bb.6:
	v_add_f64 v[0:1], v[6:7], v[70:71]
	v_add_f64 v[2:3], v[4:5], v[68:69]
	s_mov_b32 s47, 0x3fe0d888
	s_mov_b32 s46, s28
	;; [unrolled: 1-line block ×16, first 2 shown]
	v_mul_f64 v[179:180], v[124:125], s[48:49]
	v_mul_f64 v[181:182], v[118:119], s[6:7]
	;; [unrolled: 1-line block ×20, first 2 shown]
	v_add_f64 v[0:1], v[66:67], v[0:1]
	v_add_f64 v[2:3], v[64:65], v[2:3]
	v_mul_f64 v[66:67], v[152:153], s[6:7]
	v_mul_f64 v[219:220], v[106:107], s[18:19]
	;; [unrolled: 1-line block ×12, first 2 shown]
	v_dual_mov_b32 v176, v253 :: v_dual_mov_b32 v253, v242
	v_add_f64 v[0:1], v[62:63], v[0:1]
	v_add_f64 v[2:3], v[60:61], v[2:3]
	v_add_f64 v[66:67], v[66:67], -v[160:161]
	s_delay_alu instid0(VALU_DEP_3) | instskip(NEXT) | instid1(VALU_DEP_3)
	v_add_f64 v[0:1], v[58:59], v[0:1]
	v_add_f64 v[2:3], v[56:57], v[2:3]
	s_delay_alu instid0(VALU_DEP_2) | instskip(NEXT) | instid1(VALU_DEP_2)
	v_add_f64 v[0:1], v[54:55], v[0:1]
	v_add_f64 v[2:3], v[52:53], v[2:3]
	s_delay_alu instid0(VALU_DEP_2) | instskip(NEXT) | instid1(VALU_DEP_2)
	v_add_f64 v[0:1], v[50:51], v[0:1]
	v_add_f64 v[2:3], v[48:49], v[2:3]
	v_mul_f64 v[48:49], v[158:159], s[10:11]
	v_mul_f64 v[50:51], v[158:159], s[14:15]
	s_delay_alu instid0(VALU_DEP_4) | instskip(NEXT) | instid1(VALU_DEP_4)
	v_add_f64 v[0:1], v[46:47], v[0:1]
	v_add_f64 v[2:3], v[44:45], v[2:3]
	v_mul_f64 v[44:45], v[158:159], s[20:21]
	v_mul_f64 v[46:47], v[158:159], s[26:27]
	v_fma_f64 v[62:63], v[152:153], s[16:17], v[48:49]
	v_fma_f64 v[48:49], v[152:153], s[16:17], -v[48:49]
	v_fma_f64 v[64:65], v[152:153], s[18:19], v[50:51]
	v_fma_f64 v[50:51], v[152:153], s[18:19], -v[50:51]
	v_add_f64 v[0:1], v[42:43], v[0:1]
	v_add_f64 v[2:3], v[40:41], v[2:3]
	v_mul_f64 v[40:41], v[158:159], s[28:29]
	v_mul_f64 v[42:43], v[158:159], s[34:35]
	v_fma_f64 v[58:59], v[152:153], s[24:25], v[44:45]
	v_fma_f64 v[44:45], v[152:153], s[24:25], -v[44:45]
	v_fma_f64 v[60:61], v[152:153], s[22:23], v[46:47]
	v_fma_f64 v[46:47], v[152:153], s[22:23], -v[46:47]
	v_add_f64 v[62:63], v[4:5], v[62:63]
	v_add_f64 v[48:49], v[4:5], v[48:49]
	;; [unrolled: 1-line block ×4, first 2 shown]
	v_mul_f64 v[38:39], v[158:159], s[40:41]
	v_fma_f64 v[54:55], v[152:153], s[36:37], v[40:41]
	v_fma_f64 v[40:41], v[152:153], s[36:37], -v[40:41]
	v_fma_f64 v[56:57], v[152:153], s[30:31], v[42:43]
	v_fma_f64 v[42:43], v[152:153], s[30:31], -v[42:43]
	v_mul_f64 v[36:37], v[164:165], s[6:7]
	v_add_f64 v[58:59], v[4:5], v[58:59]
	v_add_f64 v[44:45], v[4:5], v[44:45]
	;; [unrolled: 1-line block ×6, first 2 shown]
	v_mul_f64 v[32:33], v[164:165], s[18:19]
	v_fma_f64 v[52:53], v[152:153], s[38:39], v[38:39]
	v_fma_f64 v[38:39], v[152:153], s[38:39], -v[38:39]
	v_add_f64 v[54:55], v[4:5], v[54:55]
	v_add_f64 v[40:41], v[4:5], v[40:41]
	;; [unrolled: 1-line block ×6, first 2 shown]
	v_mul_f64 v[28:29], v[164:165], s[16:17]
	v_fma_f64 v[34:35], v[162:163], s[54:55], v[32:33]
	v_fma_f64 v[32:33], v[162:163], s[14:15], v[32:33]
	v_add_f64 v[52:53], v[4:5], v[52:53]
	v_add_f64 v[38:39], v[4:5], v[38:39]
	;; [unrolled: 1-line block ×4, first 2 shown]
	v_mul_f64 v[24:25], v[164:165], s[22:23]
	v_fma_f64 v[30:31], v[162:163], s[50:51], v[28:29]
	v_fma_f64 v[28:29], v[162:163], s[10:11], v[28:29]
	v_add_f64 v[0:1], v[22:23], v[0:1]
	v_add_f64 v[2:3], v[20:21], v[2:3]
	v_mul_f64 v[20:21], v[164:165], s[24:25]
	v_fma_f64 v[26:27], v[162:163], s[48:49], v[24:25]
	v_fma_f64 v[24:25], v[162:163], s[26:27], v[24:25]
	v_add_f64 v[173:174], v[6:7], v[30:31]
	v_add_f64 v[30:31], v[4:5], v[50:51]
	;; [unrolled: 1-line block ×6, first 2 shown]
	v_mul_f64 v[16:17], v[164:165], s[30:31]
	v_fma_f64 v[22:23], v[162:163], s[56:57], v[20:21]
	v_fma_f64 v[20:21], v[162:163], s[20:21], v[20:21]
	v_add_f64 v[169:170], v[6:7], v[26:27]
	v_add_f64 v[26:27], v[4:5], v[66:67]
	;; [unrolled: 1-line block ×6, first 2 shown]
	v_mul_f64 v[12:13], v[164:165], s[36:37]
	v_fma_f64 v[18:19], v[162:163], s[44:45], v[16:17]
	v_fma_f64 v[16:17], v[162:163], s[34:35], v[16:17]
	v_add_f64 v[166:167], v[6:7], v[22:23]
	v_add_f64 v[10:11], v[10:11], v[0:1]
	v_mul_f64 v[0:1], v[164:165], s[38:39]
	v_fma_f64 v[14:15], v[162:163], s[46:47], v[12:13]
	v_fma_f64 v[12:13], v[162:163], s[28:29], v[12:13]
	v_add_f64 v[8:9], v[8:9], v[2:3]
	v_add_f64 v[164:165], v[4:5], v[42:43]
	;; [unrolled: 1-line block ×4, first 2 shown]
	v_fma_f64 v[2:3], v[162:163], s[42:43], v[0:1]
	v_fma_f64 v[0:1], v[162:163], s[40:41], v[0:1]
	v_add_f64 v[158:159], v[6:7], v[12:13]
	v_mul_f64 v[12:13], v[102:103], s[6:7]
	v_add_f64 v[162:163], v[6:7], v[16:17]
	v_mul_f64 v[16:17], v[106:107], s[36:37]
	;; [unrolled: 2-line block ×3, first 2 shown]
	v_add_f64 v[68:69], v[6:7], v[2:3]
	v_add_f64 v[70:71], v[6:7], v[0:1]
	;; [unrolled: 1-line block ×3, first 2 shown]
	v_fma_f64 v[4:5], v[72:73], s[0:1], v[12:13]
	v_add_f64 v[2:3], v[6:7], v[34:35]
	v_fma_f64 v[18:19], v[76:77], s[46:47], v[16:17]
	v_fma_f64 v[12:13], v[72:73], s[52:53], v[12:13]
	;; [unrolled: 1-line block ×3, first 2 shown]
	v_fma_f64 v[14:15], v[74:75], s[6:7], -v[14:15]
	v_fma_f64 v[16:17], v[76:77], s[28:29], v[16:17]
	v_add_f64 v[4:5], v[4:5], v[68:69]
	v_mul_f64 v[68:69], v[126:127], s[22:23]
	v_add_f64 v[12:13], v[12:13], v[70:71]
	v_add_f64 v[6:7], v[6:7], v[52:53]
	;; [unrolled: 1-line block ×4, first 2 shown]
	v_mul_f64 v[18:19], v[104:105], s[28:29]
	v_add_f64 v[12:13], v[16:17], v[12:13]
	s_delay_alu instid0(VALU_DEP_2) | instskip(SKIP_2) | instid1(VALU_DEP_3)
	v_fma_f64 v[20:21], v[78:79], s[36:37], v[18:19]
	v_fma_f64 v[16:17], v[78:79], s[36:37], -v[18:19]
	v_fma_f64 v[18:19], v[100:101], s[22:23], -v[179:180]
	v_add_f64 v[6:7], v[20:21], v[6:7]
	v_mul_f64 v[20:21], v[110:111], s[18:19]
	s_delay_alu instid0(VALU_DEP_4) | instskip(NEXT) | instid1(VALU_DEP_2)
	v_add_f64 v[14:15], v[16:17], v[14:15]
	v_fma_f64 v[22:23], v[80:81], s[14:15], v[20:21]
	v_fma_f64 v[16:17], v[80:81], s[54:55], v[20:21]
	v_mul_f64 v[20:21], v[102:103], s[16:17]
	s_delay_alu instid0(VALU_DEP_3) | instskip(SKIP_1) | instid1(VALU_DEP_4)
	v_add_f64 v[4:5], v[22:23], v[4:5]
	v_mul_f64 v[22:23], v[108:109], s[54:55]
	v_add_f64 v[12:13], v[16:17], v[12:13]
	s_delay_alu instid0(VALU_DEP_2) | instskip(SKIP_2) | instid1(VALU_DEP_3)
	v_fma_f64 v[32:33], v[82:83], s[18:19], v[22:23]
	v_fma_f64 v[16:17], v[82:83], s[18:19], -v[22:23]
	v_mul_f64 v[22:23], v[98:99], s[50:51]
	v_add_f64 v[6:7], v[32:33], v[6:7]
	v_mul_f64 v[32:33], v[114:115], s[30:31]
	s_delay_alu instid0(VALU_DEP_4) | instskip(NEXT) | instid1(VALU_DEP_2)
	v_add_f64 v[14:15], v[16:17], v[14:15]
	v_fma_f64 v[34:35], v[84:85], s[44:45], v[32:33]
	v_fma_f64 v[16:17], v[84:85], s[34:35], v[32:33]
	v_mul_f64 v[32:33], v[106:107], s[22:23]
	s_delay_alu instid0(VALU_DEP_3) | instskip(SKIP_1) | instid1(VALU_DEP_4)
	v_add_f64 v[4:5], v[34:35], v[4:5]
	v_mul_f64 v[34:35], v[112:113], s[34:35]
	v_add_f64 v[12:13], v[16:17], v[12:13]
	s_delay_alu instid0(VALU_DEP_2) | instskip(SKIP_3) | instid1(VALU_DEP_4)
	v_fma_f64 v[36:37], v[86:87], s[30:31], v[34:35]
	v_fma_f64 v[16:17], v[86:87], s[30:31], -v[34:35]
	v_fma_f64 v[34:35], v[76:77], s[48:49], v[32:33]
	v_fma_f64 v[32:33], v[76:77], s[26:27], v[32:33]
	v_add_f64 v[6:7], v[36:37], v[6:7]
	v_mul_f64 v[36:37], v[118:119], s[16:17]
	v_add_f64 v[14:15], v[16:17], v[14:15]
	s_delay_alu instid0(VALU_DEP_2) | instskip(SKIP_1) | instid1(VALU_DEP_2)
	v_fma_f64 v[50:51], v[88:89], s[10:11], v[36:37]
	v_fma_f64 v[16:17], v[88:89], s[50:51], v[36:37]
	v_add_f64 v[4:5], v[50:51], v[4:5]
	v_mul_f64 v[50:51], v[116:117], s[50:51]
	s_delay_alu instid0(VALU_DEP_3) | instskip(NEXT) | instid1(VALU_DEP_2)
	v_add_f64 v[12:13], v[16:17], v[12:13]
	v_fma_f64 v[52:53], v[90:91], s[16:17], v[50:51]
	v_fma_f64 v[16:17], v[90:91], s[16:17], -v[50:51]
	s_delay_alu instid0(VALU_DEP_2) | instskip(SKIP_1) | instid1(VALU_DEP_3)
	v_add_f64 v[6:7], v[52:53], v[6:7]
	v_mul_f64 v[52:53], v[122:123], s[24:25]
	v_add_f64 v[14:15], v[16:17], v[14:15]
	s_delay_alu instid0(VALU_DEP_2) | instskip(SKIP_1) | instid1(VALU_DEP_2)
	v_fma_f64 v[64:65], v[92:93], s[56:57], v[52:53]
	v_fma_f64 v[16:17], v[92:93], s[20:21], v[52:53]
	v_add_f64 v[4:5], v[64:65], v[4:5]
	v_mul_f64 v[64:65], v[120:121], s[20:21]
	s_delay_alu instid0(VALU_DEP_3) | instskip(NEXT) | instid1(VALU_DEP_2)
	v_add_f64 v[12:13], v[16:17], v[12:13]
	v_fma_f64 v[16:17], v[94:95], s[24:25], -v[64:65]
	v_fma_f64 v[66:67], v[94:95], s[24:25], v[64:65]
	s_delay_alu instid0(VALU_DEP_2) | instskip(SKIP_1) | instid1(VALU_DEP_3)
	v_add_f64 v[16:17], v[16:17], v[14:15]
	v_fma_f64 v[14:15], v[96:97], s[48:49], v[68:69]
	v_add_f64 v[66:67], v[66:67], v[6:7]
	v_fma_f64 v[6:7], v[96:97], s[26:27], v[68:69]
	s_delay_alu instid0(VALU_DEP_3)
	v_add_f64 v[14:15], v[14:15], v[12:13]
	v_add_f64 v[12:13], v[18:19], v[16:17]
	v_fma_f64 v[16:17], v[72:73], s[10:11], v[20:21]
	v_fma_f64 v[18:19], v[74:75], s[16:17], v[22:23]
	;; [unrolled: 1-line block ×3, first 2 shown]
	v_fma_f64 v[22:23], v[74:75], s[16:17], -v[22:23]
	v_add_f64 v[6:7], v[6:7], v[4:5]
	v_fma_f64 v[4:5], v[100:101], s[22:23], v[179:180]
	v_mul_f64 v[179:180], v[124:125], s[20:21]
	v_add_f64 v[16:17], v[16:17], v[152:153]
	v_add_f64 v[18:19], v[18:19], v[54:55]
	;; [unrolled: 1-line block ×4, first 2 shown]
	v_mul_f64 v[152:153], v[126:127], s[24:25]
	v_add_f64 v[4:5], v[4:5], v[66:67]
	v_mul_f64 v[40:41], v[110:111], s[22:23]
	v_mul_f64 v[158:159], v[108:109], s[56:57]
	v_add_f64 v[16:17], v[34:35], v[16:17]
	v_mul_f64 v[34:35], v[104:105], s[26:27]
	v_add_f64 v[20:21], v[32:33], v[20:21]
	v_add_f64 v[40:41], v[138:139], v[40:41]
	v_mul_f64 v[138:139], v[116:117], s[56:57]
	s_delay_alu instid0(VALU_DEP_4) | instskip(SKIP_2) | instid1(VALU_DEP_3)
	v_fma_f64 v[36:37], v[78:79], s[22:23], v[34:35]
	v_fma_f64 v[32:33], v[78:79], s[22:23], -v[34:35]
	v_fma_f64 v[34:35], v[100:101], s[24:25], -v[179:180]
	v_add_f64 v[18:19], v[36:37], v[18:19]
	v_mul_f64 v[36:37], v[110:111], s[30:31]
	s_delay_alu instid0(VALU_DEP_4) | instskip(NEXT) | instid1(VALU_DEP_2)
	v_add_f64 v[22:23], v[32:33], v[22:23]
	v_fma_f64 v[38:39], v[80:81], s[34:35], v[36:37]
	v_fma_f64 v[32:33], v[80:81], s[44:45], v[36:37]
	v_mul_f64 v[36:37], v[106:107], s[16:17]
	s_delay_alu instid0(VALU_DEP_3) | instskip(SKIP_1) | instid1(VALU_DEP_4)
	v_add_f64 v[16:17], v[38:39], v[16:17]
	v_mul_f64 v[38:39], v[108:109], s[44:45]
	v_add_f64 v[20:21], v[32:33], v[20:21]
	s_delay_alu instid0(VALU_DEP_4) | instskip(SKIP_1) | instid1(VALU_DEP_4)
	v_add_f64 v[36:37], v[134:135], v[36:37]
	v_mul_f64 v[134:135], v[112:113], s[46:47]
	v_fma_f64 v[50:51], v[82:83], s[30:31], v[38:39]
	v_fma_f64 v[32:33], v[82:83], s[30:31], -v[38:39]
	v_mul_f64 v[38:39], v[78:79], s[16:17]
	s_delay_alu instid0(VALU_DEP_3) | instskip(SKIP_1) | instid1(VALU_DEP_4)
	v_add_f64 v[18:19], v[50:51], v[18:19]
	v_mul_f64 v[50:51], v[114:115], s[6:7]
	v_add_f64 v[22:23], v[32:33], v[22:23]
	s_delay_alu instid0(VALU_DEP_4) | instskip(SKIP_1) | instid1(VALU_DEP_4)
	v_add_f64 v[38:39], v[38:39], -v[132:133]
	v_mul_f64 v[132:133], v[114:115], s[36:37]
	v_fma_f64 v[52:53], v[84:85], s[52:53], v[50:51]
	v_fma_f64 v[32:33], v[84:85], s[0:1], v[50:51]
	v_mul_f64 v[50:51], v[82:83], s[22:23]
	s_delay_alu instid0(VALU_DEP_3) | instskip(SKIP_1) | instid1(VALU_DEP_4)
	v_add_f64 v[16:17], v[52:53], v[16:17]
	v_mul_f64 v[52:53], v[112:113], s[0:1]
	v_add_f64 v[20:21], v[32:33], v[20:21]
	s_delay_alu instid0(VALU_DEP_4) | instskip(SKIP_1) | instid1(VALU_DEP_4)
	v_add_f64 v[50:51], v[50:51], -v[136:137]
	v_mul_f64 v[136:137], v[118:119], s[24:25]
	v_fma_f64 v[54:55], v[86:87], s[6:7], v[52:53]
	v_fma_f64 v[32:33], v[86:87], s[6:7], -v[52:53]
	v_mul_f64 v[52:53], v[114:115], s[24:25]
	s_delay_alu instid0(VALU_DEP_3) | instskip(SKIP_1) | instid1(VALU_DEP_4)
	v_add_f64 v[18:19], v[54:55], v[18:19]
	v_mul_f64 v[54:55], v[118:119], s[38:39]
	v_add_f64 v[22:23], v[32:33], v[22:23]
	s_delay_alu instid0(VALU_DEP_4) | instskip(SKIP_1) | instid1(VALU_DEP_4)
	v_add_f64 v[52:53], v[142:143], v[52:53]
	v_mul_f64 v[142:143], v[120:121], s[50:51]
	v_fma_f64 v[64:65], v[88:89], s[42:43], v[54:55]
	v_fma_f64 v[32:33], v[88:89], s[40:41], v[54:55]
	v_mul_f64 v[54:55], v[86:87], s[24:25]
	s_delay_alu instid0(VALU_DEP_3) | instskip(SKIP_1) | instid1(VALU_DEP_4)
	v_add_f64 v[16:17], v[64:65], v[16:17]
	v_mul_f64 v[64:65], v[116:117], s[40:41]
	v_add_f64 v[20:21], v[32:33], v[20:21]
	s_delay_alu instid0(VALU_DEP_4) | instskip(SKIP_1) | instid1(VALU_DEP_4)
	v_add_f64 v[54:55], v[54:55], -v[140:141]
	v_mul_f64 v[140:141], v[122:123], s[16:17]
	v_fma_f64 v[66:67], v[90:91], s[38:39], v[64:65]
	v_fma_f64 v[32:33], v[90:91], s[38:39], -v[64:65]
	v_mul_f64 v[64:65], v[118:119], s[30:31]
	s_delay_alu instid0(VALU_DEP_3) | instskip(SKIP_1) | instid1(VALU_DEP_4)
	v_add_f64 v[18:19], v[66:67], v[18:19]
	v_mul_f64 v[66:67], v[122:123], s[18:19]
	v_add_f64 v[22:23], v[32:33], v[22:23]
	s_delay_alu instid0(VALU_DEP_4) | instskip(SKIP_1) | instid1(VALU_DEP_4)
	v_add_f64 v[64:65], v[146:147], v[64:65]
	v_mul_f64 v[146:147], v[124:125], s[52:53]
	v_fma_f64 v[68:69], v[92:93], s[14:15], v[66:67]
	v_fma_f64 v[32:33], v[92:93], s[54:55], v[66:67]
	v_mul_f64 v[66:67], v[98:99], s[26:27]
	s_delay_alu instid0(VALU_DEP_3) | instskip(SKIP_1) | instid1(VALU_DEP_4)
	v_add_f64 v[16:17], v[68:69], v[16:17]
	v_mul_f64 v[68:69], v[120:121], s[54:55]
	v_add_f64 v[20:21], v[32:33], v[20:21]
	s_delay_alu instid0(VALU_DEP_2) | instskip(SKIP_2) | instid1(VALU_DEP_3)
	v_fma_f64 v[32:33], v[94:95], s[18:19], -v[68:69]
	v_fma_f64 v[70:71], v[94:95], s[18:19], v[68:69]
	v_mul_f64 v[68:69], v[106:107], s[30:31]
	v_add_f64 v[32:33], v[32:33], v[22:23]
	v_fma_f64 v[22:23], v[96:97], s[20:21], v[152:153]
	s_delay_alu instid0(VALU_DEP_4) | instskip(SKIP_2) | instid1(VALU_DEP_4)
	v_add_f64 v[70:71], v[70:71], v[18:19]
	v_fma_f64 v[18:19], v[96:97], s[56:57], v[152:153]
	v_mul_f64 v[152:153], v[106:107], s[38:39]
	v_add_f64 v[22:23], v[22:23], v[20:21]
	v_add_f64 v[20:21], v[34:35], v[32:33]
	v_mul_f64 v[32:33], v[102:103], s[18:19]
	v_mul_f64 v[34:35], v[74:75], s[18:19]
	v_add_f64 v[18:19], v[18:19], v[16:17]
	v_fma_f64 v[16:17], v[100:101], s[24:25], v[179:180]
	v_mul_f64 v[179:180], v[112:113], s[54:55]
	v_add_f64 v[32:33], v[130:131], v[32:33]
	v_add_f64 v[34:35], v[34:35], -v[128:129]
	v_mul_f64 v[128:129], v[110:111], s[38:39]
	v_add_f64 v[16:17], v[16:17], v[70:71]
	v_mul_f64 v[70:71], v[104:105], s[34:35]
	v_mul_f64 v[130:131], v[108:109], s[40:41]
	v_add_f64 v[24:25], v[32:33], v[24:25]
	v_add_f64 v[26:27], v[34:35], v[26:27]
	v_mul_f64 v[32:33], v[90:91], s[30:31]
	v_mul_f64 v[34:35], v[122:123], s[36:37]
	s_delay_alu instid0(VALU_DEP_4) | instskip(NEXT) | instid1(VALU_DEP_4)
	v_add_f64 v[24:25], v[36:37], v[24:25]
	v_add_f64 v[26:27], v[38:39], v[26:27]
	s_delay_alu instid0(VALU_DEP_4)
	v_add_f64 v[32:33], v[32:33], -v[144:145]
	v_mul_f64 v[36:37], v[94:95], s[36:37]
	v_add_f64 v[34:35], v[150:151], v[34:35]
	v_mul_f64 v[38:39], v[126:127], s[38:39]
	v_mul_f64 v[144:145], v[126:127], s[6:7]
	;; [unrolled: 1-line block ×3, first 2 shown]
	v_add_f64 v[24:25], v[40:41], v[24:25]
	v_add_f64 v[26:27], v[50:51], v[26:27]
	v_fma_f64 v[40:41], v[76:77], s[56:57], v[195:196]
	v_add_f64 v[36:37], v[36:37], -v[148:149]
	v_mul_f64 v[148:149], v[102:103], s[30:31]
	v_add_f64 v[38:39], v[156:157], v[38:39]
	v_mul_f64 v[156:157], v[110:111], s[24:25]
	v_mul_f64 v[50:51], v[98:99], s[56:57]
	v_add_f64 v[24:25], v[52:53], v[24:25]
	v_add_f64 v[26:27], v[54:55], v[26:27]
	v_mul_f64 v[52:53], v[102:103], s[36:37]
	v_mul_f64 v[54:55], v[98:99], s[46:47]
	s_delay_alu instid0(VALU_DEP_4) | instskip(NEXT) | instid1(VALU_DEP_4)
	v_add_f64 v[24:25], v[64:65], v[24:25]
	v_add_f64 v[26:27], v[32:33], v[26:27]
	v_mul_f64 v[32:33], v[100:101], s[38:39]
	v_mul_f64 v[64:65], v[102:103], s[22:23]
	s_delay_alu instid0(VALU_DEP_4) | instskip(NEXT) | instid1(VALU_DEP_4)
	v_add_f64 v[24:25], v[34:35], v[24:25]
	v_add_f64 v[34:35], v[36:37], v[26:27]
	s_delay_alu instid0(VALU_DEP_4) | instskip(SKIP_3) | instid1(VALU_DEP_4)
	v_add_f64 v[32:33], v[32:33], -v[154:155]
	v_fma_f64 v[36:37], v[76:77], s[42:43], v[152:153]
	v_mul_f64 v[154:155], v[104:105], s[42:43]
	v_add_f64 v[26:27], v[38:39], v[24:25]
	v_add_f64 v[24:25], v[32:33], v[34:35]
	v_fma_f64 v[32:33], v[72:73], s[26:27], v[64:65]
	v_fma_f64 v[34:35], v[74:75], s[30:31], -v[150:151]
	v_fma_f64 v[64:65], v[72:73], s[48:49], v[64:65]
	s_delay_alu instid0(VALU_DEP_3) | instskip(SKIP_1) | instid1(VALU_DEP_4)
	v_add_f64 v[28:29], v[32:33], v[28:29]
	v_fma_f64 v[32:33], v[74:75], s[22:23], -v[66:67]
	v_add_f64 v[34:35], v[34:35], v[48:49]
	v_fma_f64 v[66:67], v[74:75], s[22:23], v[66:67]
	v_add_f64 v[2:3], v[64:65], v[2:3]
	v_fma_f64 v[64:65], v[78:79], s[30:31], v[70:71]
	v_mul_f64 v[48:49], v[102:103], s[24:25]
	v_add_f64 v[30:31], v[32:33], v[30:31]
	v_fma_f64 v[32:33], v[76:77], s[34:35], v[68:69]
	v_fma_f64 v[68:69], v[76:77], s[44:45], v[68:69]
	v_add_f64 v[0:1], v[66:67], v[0:1]
	v_fma_f64 v[66:67], v[80:81], s[42:43], v[128:129]
	s_delay_alu instid0(VALU_DEP_4)
	v_add_f64 v[28:29], v[32:33], v[28:29]
	v_fma_f64 v[32:33], v[78:79], s[30:31], -v[70:71]
	v_add_f64 v[2:3], v[68:69], v[2:3]
	v_fma_f64 v[68:69], v[82:83], s[38:39], v[130:131]
	v_add_f64 v[0:1], v[64:65], v[0:1]
	v_fma_f64 v[64:65], v[84:85], s[28:29], v[132:133]
	;; [unrolled: 2-line block ×5, first 2 shown]
	v_add_f64 v[28:29], v[32:33], v[28:29]
	v_fma_f64 v[32:33], v[82:83], s[38:39], -v[130:131]
	v_add_f64 v[2:3], v[64:65], v[2:3]
	v_fma_f64 v[64:65], v[90:91], s[24:25], v[138:139]
	v_add_f64 v[0:1], v[66:67], v[0:1]
	v_fma_f64 v[66:67], v[92:93], s[10:11], v[140:141]
	v_add_f64 v[30:31], v[32:33], v[30:31]
	v_fma_f64 v[32:33], v[84:85], s[46:47], v[132:133]
	v_add_f64 v[2:3], v[68:69], v[2:3]
	v_add_f64 v[0:1], v[64:65], v[0:1]
	v_fma_f64 v[64:65], v[96:97], s[0:1], v[144:145]
	v_fma_f64 v[68:69], v[94:95], s[16:17], v[142:143]
	v_add_f64 v[28:29], v[32:33], v[28:29]
	v_fma_f64 v[32:33], v[86:87], s[36:37], -v[134:135]
	v_add_f64 v[2:3], v[66:67], v[2:3]
	v_fma_f64 v[66:67], v[100:101], s[6:7], v[146:147]
	v_add_f64 v[0:1], v[68:69], v[0:1]
	s_delay_alu instid0(VALU_DEP_4)
	v_add_f64 v[30:31], v[32:33], v[30:31]
	v_fma_f64 v[32:33], v[88:89], s[56:57], v[136:137]
	v_add_f64 v[2:3], v[64:65], v[2:3]
	v_mul_lo_u16 v64, v255, 17
	v_mov_b32_e32 v175, v241
	v_mul_f64 v[241:242], v[124:125], s[34:35]
	v_mul_f64 v[124:125], v[124:125], s[50:51]
	v_add_f64 v[0:1], v[66:67], v[0:1]
	v_and_b32_e32 v64, 0xffff, v64
	s_delay_alu instid0(VALU_DEP_1) | instskip(SKIP_2) | instid1(VALU_DEP_1)
	v_add_lshl_u32 v64, v168, v64, 4
	v_add_f64 v[28:29], v[32:33], v[28:29]
	v_fma_f64 v[32:33], v[90:91], s[24:25], -v[138:139]
	v_add_f64 v[30:31], v[32:33], v[30:31]
	v_fma_f64 v[32:33], v[92:93], s[50:51], v[140:141]
	s_delay_alu instid0(VALU_DEP_1) | instskip(SKIP_1) | instid1(VALU_DEP_1)
	v_add_f64 v[28:29], v[32:33], v[28:29]
	v_fma_f64 v[32:33], v[94:95], s[16:17], -v[142:143]
	v_add_f64 v[32:33], v[32:33], v[30:31]
	v_fma_f64 v[30:31], v[96:97], s[52:53], v[144:145]
	s_delay_alu instid0(VALU_DEP_1) | instskip(SKIP_1) | instid1(VALU_DEP_1)
	v_add_f64 v[30:31], v[30:31], v[28:29]
	v_fma_f64 v[28:29], v[100:101], s[6:7], -v[146:147]
	v_add_f64 v[28:29], v[28:29], v[32:33]
	v_fma_f64 v[32:33], v[72:73], s[34:35], v[148:149]
	s_delay_alu instid0(VALU_DEP_1) | instskip(SKIP_1) | instid1(VALU_DEP_2)
	v_add_f64 v[32:33], v[32:33], v[177:178]
	v_mul_f64 v[177:178], v[114:115], s[18:19]
	v_add_f64 v[32:33], v[36:37], v[32:33]
	v_fma_f64 v[36:37], v[78:79], s[38:39], -v[154:155]
	s_delay_alu instid0(VALU_DEP_1) | instskip(SKIP_1) | instid1(VALU_DEP_1)
	v_add_f64 v[34:35], v[36:37], v[34:35]
	v_fma_f64 v[36:37], v[80:81], s[56:57], v[156:157]
	v_add_f64 v[32:33], v[36:37], v[32:33]
	v_fma_f64 v[36:37], v[82:83], s[24:25], -v[158:159]
	s_delay_alu instid0(VALU_DEP_1) | instskip(SKIP_1) | instid1(VALU_DEP_1)
	v_add_f64 v[34:35], v[36:37], v[34:35]
	v_fma_f64 v[36:37], v[84:85], s[54:55], v[177:178]
	;; [unrolled: 5-line block ×6, first 2 shown]
	v_add_f64 v[36:37], v[36:37], v[171:172]
	v_mul_f64 v[171:172], v[98:99], s[40:41]
	v_mul_f64 v[98:99], v[106:107], s[6:7]
	s_delay_alu instid0(VALU_DEP_3) | instskip(NEXT) | instid1(VALU_DEP_3)
	v_add_f64 v[36:37], v[40:41], v[36:37]
	v_fma_f64 v[38:39], v[74:75], s[38:39], -v[171:172]
	v_fma_f64 v[40:41], v[78:79], s[24:25], -v[197:198]
	s_delay_alu instid0(VALU_DEP_4) | instskip(NEXT) | instid1(VALU_DEP_3)
	v_fma_f64 v[102:103], v[76:77], s[0:1], v[98:99]
	v_add_f64 v[38:39], v[38:39], v[46:47]
	v_fma_f64 v[46:47], v[74:75], s[24:25], -v[50:51]
	v_fma_f64 v[50:51], v[74:75], s[24:25], v[50:51]
	s_delay_alu instid0(VALU_DEP_3) | instskip(SKIP_1) | instid1(VALU_DEP_4)
	v_add_f64 v[38:39], v[40:41], v[38:39]
	v_fma_f64 v[40:41], v[80:81], s[52:53], v[199:200]
	v_add_f64 v[46:47], v[46:47], v[164:165]
	s_delay_alu instid0(VALU_DEP_4) | instskip(SKIP_4) | instid1(VALU_DEP_1)
	v_add_f64 v[50:51], v[50:51], v[56:57]
	v_fma_f64 v[56:57], v[76:77], s[52:53], v[98:99]
	v_fma_f64 v[98:99], v[100:101], s[16:17], v[124:125]
	v_add_f64 v[36:37], v[40:41], v[36:37]
	v_fma_f64 v[40:41], v[82:83], s[6:7], -v[201:202]
	v_add_f64 v[38:39], v[40:41], v[38:39]
	v_fma_f64 v[40:41], v[84:85], s[10:11], v[203:204]
	s_delay_alu instid0(VALU_DEP_1) | instskip(SKIP_1) | instid1(VALU_DEP_1)
	v_add_f64 v[36:37], v[40:41], v[36:37]
	v_fma_f64 v[40:41], v[86:87], s[16:17], -v[205:206]
	v_add_f64 v[38:39], v[40:41], v[38:39]
	v_fma_f64 v[40:41], v[88:89], s[28:29], v[207:208]
	s_delay_alu instid0(VALU_DEP_1) | instskip(SKIP_1) | instid1(VALU_DEP_1)
	;; [unrolled: 5-line block ×4, first 2 shown]
	v_add_f64 v[38:39], v[38:39], v[36:37]
	v_fma_f64 v[36:37], v[100:101], s[18:19], -v[217:218]
	v_add_f64 v[36:37], v[36:37], v[40:41]
	v_fma_f64 v[40:41], v[72:73], s[46:47], v[52:53]
	v_fma_f64 v[52:53], v[72:73], s[28:29], v[52:53]
	s_delay_alu instid0(VALU_DEP_2) | instskip(SKIP_1) | instid1(VALU_DEP_3)
	v_add_f64 v[40:41], v[40:41], v[42:43]
	v_fma_f64 v[42:43], v[74:75], s[36:37], -v[54:55]
	v_add_f64 v[52:53], v[52:53], v[166:167]
	v_fma_f64 v[54:55], v[74:75], s[36:37], v[54:55]
	s_delay_alu instid0(VALU_DEP_3) | instskip(SKIP_1) | instid1(VALU_DEP_3)
	v_add_f64 v[42:43], v[42:43], v[44:45]
	v_fma_f64 v[44:45], v[76:77], s[54:55], v[219:220]
	v_add_f64 v[54:55], v[54:55], v[58:59]
	v_fma_f64 v[58:59], v[100:101], s[30:31], v[241:242]
	s_delay_alu instid0(VALU_DEP_3) | instskip(SKIP_1) | instid1(VALU_DEP_1)
	v_add_f64 v[40:41], v[44:45], v[40:41]
	v_fma_f64 v[44:45], v[78:79], s[18:19], -v[221:222]
	v_add_f64 v[42:43], v[44:45], v[42:43]
	v_fma_f64 v[44:45], v[80:81], s[10:11], v[223:224]
	s_delay_alu instid0(VALU_DEP_1) | instskip(SKIP_1) | instid1(VALU_DEP_1)
	v_add_f64 v[40:41], v[44:45], v[40:41]
	v_fma_f64 v[44:45], v[82:83], s[16:17], -v[225:226]
	v_add_f64 v[42:43], v[44:45], v[42:43]
	v_fma_f64 v[44:45], v[84:85], s[40:41], v[227:228]
	s_delay_alu instid0(VALU_DEP_1) | instskip(SKIP_1) | instid1(VALU_DEP_1)
	;; [unrolled: 5-line block ×4, first 2 shown]
	v_add_f64 v[40:41], v[44:45], v[40:41]
	v_fma_f64 v[44:45], v[94:95], s[6:7], -v[237:238]
	v_add_f64 v[44:45], v[44:45], v[42:43]
	v_fma_f64 v[42:43], v[96:97], s[34:35], v[239:240]
	s_delay_alu instid0(VALU_DEP_1) | instskip(SKIP_3) | instid1(VALU_DEP_3)
	v_add_f64 v[42:43], v[42:43], v[40:41]
	v_fma_f64 v[40:41], v[100:101], s[30:31], -v[241:242]
	v_dual_mov_b32 v242, v253 :: v_dual_mov_b32 v253, v176
	v_mov_b32_e32 v241, v175
	v_add_f64 v[40:41], v[40:41], v[44:45]
	v_fma_f64 v[44:45], v[72:73], s[56:57], v[48:49]
	v_fma_f64 v[48:49], v[72:73], s[20:21], v[48:49]
	s_delay_alu instid0(VALU_DEP_2) | instskip(NEXT) | instid1(VALU_DEP_2)
	v_add_f64 v[44:45], v[44:45], v[162:163]
	v_add_f64 v[48:49], v[48:49], v[160:161]
	s_delay_alu instid0(VALU_DEP_2) | instskip(SKIP_1) | instid1(VALU_DEP_3)
	v_add_f64 v[44:45], v[102:103], v[44:45]
	v_mul_f64 v[102:103], v[104:105], s[0:1]
	v_add_f64 v[48:49], v[56:57], v[48:49]
	s_delay_alu instid0(VALU_DEP_2) | instskip(SKIP_2) | instid1(VALU_DEP_3)
	v_fma_f64 v[104:105], v[78:79], s[6:7], -v[102:103]
	v_fma_f64 v[56:57], v[78:79], s[6:7], v[102:103]
	v_fma_f64 v[102:103], v[100:101], s[36:37], v[191:192]
	v_add_f64 v[46:47], v[104:105], v[46:47]
	v_mul_f64 v[104:105], v[110:111], s[36:37]
	s_delay_alu instid0(VALU_DEP_4) | instskip(NEXT) | instid1(VALU_DEP_2)
	v_add_f64 v[50:51], v[56:57], v[50:51]
	v_fma_f64 v[106:107], v[80:81], s[28:29], v[104:105]
	v_fma_f64 v[56:57], v[80:81], s[46:47], v[104:105]
	s_delay_alu instid0(VALU_DEP_2) | instskip(SKIP_1) | instid1(VALU_DEP_3)
	v_add_f64 v[44:45], v[106:107], v[44:45]
	v_mul_f64 v[106:107], v[108:109], s[28:29]
	v_add_f64 v[48:49], v[56:57], v[48:49]
	s_delay_alu instid0(VALU_DEP_2) | instskip(SKIP_1) | instid1(VALU_DEP_2)
	v_fma_f64 v[108:109], v[82:83], s[36:37], -v[106:107]
	v_fma_f64 v[56:57], v[82:83], s[36:37], v[106:107]
	v_add_f64 v[46:47], v[108:109], v[46:47]
	v_mul_f64 v[108:109], v[114:115], s[22:23]
	s_delay_alu instid0(VALU_DEP_3) | instskip(NEXT) | instid1(VALU_DEP_2)
	v_add_f64 v[50:51], v[56:57], v[50:51]
	v_fma_f64 v[110:111], v[84:85], s[48:49], v[108:109]
	v_fma_f64 v[56:57], v[84:85], s[26:27], v[108:109]
	s_delay_alu instid0(VALU_DEP_2) | instskip(SKIP_1) | instid1(VALU_DEP_3)
	v_add_f64 v[44:45], v[110:111], v[44:45]
	v_mul_f64 v[110:111], v[112:113], s[48:49]
	v_add_f64 v[48:49], v[56:57], v[48:49]
	s_delay_alu instid0(VALU_DEP_2) | instskip(SKIP_1) | instid1(VALU_DEP_2)
	v_fma_f64 v[112:113], v[86:87], s[22:23], -v[110:111]
	v_fma_f64 v[56:57], v[86:87], s[22:23], v[110:111]
	v_add_f64 v[46:47], v[112:113], v[46:47]
	v_mul_f64 v[112:113], v[118:119], s[18:19]
	s_delay_alu instid0(VALU_DEP_3) | instskip(NEXT) | instid1(VALU_DEP_2)
	v_add_f64 v[50:51], v[56:57], v[50:51]
	v_fma_f64 v[114:115], v[88:89], s[14:15], v[112:113]
	v_fma_f64 v[56:57], v[88:89], s[54:55], v[112:113]
	s_delay_alu instid0(VALU_DEP_2) | instskip(SKIP_1) | instid1(VALU_DEP_3)
	v_add_f64 v[44:45], v[114:115], v[44:45]
	v_mul_f64 v[114:115], v[116:117], s[14:15]
	v_add_f64 v[48:49], v[56:57], v[48:49]
	s_delay_alu instid0(VALU_DEP_2) | instskip(SKIP_1) | instid1(VALU_DEP_2)
	v_fma_f64 v[116:117], v[90:91], s[18:19], -v[114:115]
	v_fma_f64 v[56:57], v[90:91], s[18:19], v[114:115]
	v_add_f64 v[46:47], v[116:117], v[46:47]
	v_mul_f64 v[116:117], v[122:123], s[38:39]
	s_delay_alu instid0(VALU_DEP_3) | instskip(SKIP_1) | instid1(VALU_DEP_3)
	v_add_f64 v[50:51], v[56:57], v[50:51]
	v_mul_f64 v[122:123], v[126:127], s[16:17]
	v_fma_f64 v[118:119], v[92:93], s[40:41], v[116:117]
	v_fma_f64 v[56:57], v[92:93], s[42:43], v[116:117]
	s_delay_alu instid0(VALU_DEP_2) | instskip(SKIP_1) | instid1(VALU_DEP_3)
	v_add_f64 v[44:45], v[118:119], v[44:45]
	v_mul_f64 v[118:119], v[120:121], s[40:41]
	v_add_f64 v[48:49], v[56:57], v[48:49]
	s_delay_alu instid0(VALU_DEP_2) | instskip(SKIP_1) | instid1(VALU_DEP_2)
	v_fma_f64 v[56:57], v[94:95], s[38:39], v[118:119]
	v_fma_f64 v[120:121], v[94:95], s[38:39], -v[118:119]
	v_add_f64 v[56:57], v[56:57], v[50:51]
	v_fma_f64 v[50:51], v[96:97], s[10:11], v[122:123]
	s_delay_alu instid0(VALU_DEP_3) | instskip(SKIP_1) | instid1(VALU_DEP_3)
	v_add_f64 v[120:121], v[120:121], v[46:47]
	v_fma_f64 v[46:47], v[96:97], s[50:51], v[122:123]
	v_add_f64 v[50:51], v[50:51], v[48:49]
	v_add_f64 v[48:49], v[98:99], v[56:57]
	v_fma_f64 v[56:57], v[76:77], s[14:15], v[219:220]
	v_fma_f64 v[98:99], v[100:101], s[18:19], v[217:218]
	v_add_f64 v[46:47], v[46:47], v[44:45]
	v_fma_f64 v[44:45], v[100:101], s[16:17], -v[124:125]
	s_delay_alu instid0(VALU_DEP_4) | instskip(SKIP_1) | instid1(VALU_DEP_3)
	v_add_f64 v[52:53], v[56:57], v[52:53]
	v_fma_f64 v[56:57], v[78:79], s[18:19], v[221:222]
	v_add_f64 v[44:45], v[44:45], v[120:121]
	s_delay_alu instid0(VALU_DEP_2) | instskip(SKIP_1) | instid1(VALU_DEP_1)
	v_add_f64 v[54:55], v[56:57], v[54:55]
	v_fma_f64 v[56:57], v[80:81], s[50:51], v[223:224]
	v_add_f64 v[52:53], v[56:57], v[52:53]
	v_fma_f64 v[56:57], v[82:83], s[16:17], v[225:226]
	s_delay_alu instid0(VALU_DEP_1) | instskip(SKIP_1) | instid1(VALU_DEP_1)
	v_add_f64 v[54:55], v[56:57], v[54:55]
	v_fma_f64 v[56:57], v[84:85], s[42:43], v[227:228]
	v_add_f64 v[52:53], v[56:57], v[52:53]
	v_fma_f64 v[56:57], v[86:87], s[38:39], v[229:230]
	s_delay_alu instid0(VALU_DEP_1) | instskip(SKIP_1) | instid1(VALU_DEP_1)
	;; [unrolled: 5-line block ×4, first 2 shown]
	v_add_f64 v[56:57], v[56:57], v[54:55]
	v_fma_f64 v[54:55], v[96:97], s[44:45], v[239:240]
	v_add_f64 v[54:55], v[54:55], v[52:53]
	s_delay_alu instid0(VALU_DEP_3) | instskip(SKIP_2) | instid1(VALU_DEP_2)
	v_add_f64 v[52:53], v[58:59], v[56:57]
	v_fma_f64 v[56:57], v[72:73], s[42:43], v[193:194]
	v_fma_f64 v[58:59], v[74:75], s[38:39], v[171:172]
	v_add_f64 v[56:57], v[56:57], v[169:170]
	s_delay_alu instid0(VALU_DEP_2) | instskip(SKIP_1) | instid1(VALU_DEP_1)
	v_add_f64 v[58:59], v[58:59], v[60:61]
	v_fma_f64 v[60:61], v[76:77], s[20:21], v[195:196]
	v_add_f64 v[56:57], v[60:61], v[56:57]
	v_fma_f64 v[60:61], v[78:79], s[24:25], v[197:198]
	s_delay_alu instid0(VALU_DEP_1) | instskip(SKIP_1) | instid1(VALU_DEP_1)
	v_add_f64 v[58:59], v[60:61], v[58:59]
	v_fma_f64 v[60:61], v[80:81], s[0:1], v[199:200]
	v_add_f64 v[56:57], v[60:61], v[56:57]
	v_fma_f64 v[60:61], v[82:83], s[6:7], v[201:202]
	s_delay_alu instid0(VALU_DEP_1) | instskip(SKIP_1) | instid1(VALU_DEP_1)
	;; [unrolled: 5-line block ×5, first 2 shown]
	v_add_f64 v[60:61], v[60:61], v[58:59]
	v_fma_f64 v[58:59], v[96:97], s[14:15], v[215:216]
	v_add_f64 v[58:59], v[58:59], v[56:57]
	s_delay_alu instid0(VALU_DEP_3) | instskip(SKIP_2) | instid1(VALU_DEP_2)
	v_add_f64 v[56:57], v[98:99], v[60:61]
	v_fma_f64 v[60:61], v[72:73], s[44:45], v[148:149]
	v_fma_f64 v[98:99], v[74:75], s[30:31], v[150:151]
	v_add_f64 v[60:61], v[60:61], v[173:174]
	s_delay_alu instid0(VALU_DEP_2) | instskip(SKIP_1) | instid1(VALU_DEP_1)
	v_add_f64 v[62:63], v[98:99], v[62:63]
	v_fma_f64 v[98:99], v[76:77], s[40:41], v[152:153]
	v_add_f64 v[60:61], v[98:99], v[60:61]
	v_fma_f64 v[98:99], v[78:79], s[38:39], v[154:155]
	s_delay_alu instid0(VALU_DEP_1) | instskip(SKIP_1) | instid1(VALU_DEP_1)
	v_add_f64 v[62:63], v[98:99], v[62:63]
	v_fma_f64 v[98:99], v[80:81], s[20:21], v[156:157]
	v_add_f64 v[60:61], v[98:99], v[60:61]
	v_fma_f64 v[98:99], v[82:83], s[24:25], v[158:159]
	s_delay_alu instid0(VALU_DEP_1) | instskip(SKIP_1) | instid1(VALU_DEP_1)
	;; [unrolled: 5-line block ×5, first 2 shown]
	v_add_f64 v[98:99], v[98:99], v[62:63]
	v_fma_f64 v[62:63], v[96:97], s[46:47], v[189:190]
	v_add_f64 v[62:63], v[62:63], v[60:61]
	s_delay_alu instid0(VALU_DEP_3)
	v_add_f64 v[60:61], v[102:103], v[98:99]
	ds_store_b128 v64, v[8:11]
	ds_store_b128 v64, v[24:27] offset:16
	ds_store_b128 v64, v[28:31] offset:32
	ds_store_b128 v64, v[32:35] offset:48
	ds_store_b128 v64, v[36:39] offset:64
	ds_store_b128 v64, v[40:43] offset:80
	ds_store_b128 v64, v[44:47] offset:96
	ds_store_b128 v64, v[20:23] offset:112
	ds_store_b128 v64, v[12:15] offset:128
	ds_store_b128 v64, v[4:7] offset:144
	ds_store_b128 v64, v[16:19] offset:160
	ds_store_b128 v64, v[48:51] offset:176
	ds_store_b128 v64, v[52:55] offset:192
	ds_store_b128 v64, v[56:59] offset:208
	ds_store_b128 v64, v[60:63] offset:224
	ds_store_b128 v64, v[0:3] offset:240
	ds_store_b128 v64, v[245:248] offset:256
.LBB0_7:
	s_or_b32 exec_lo, exec_lo, s33
	v_add_nc_u16 v2, v255, 34
	v_add_nc_u16 v6, v255, 0x44
	v_add_co_u32 v3, s0, 0xffffffef, v255
	s_delay_alu instid0(VALU_DEP_1) | instskip(NEXT) | instid1(VALU_DEP_4)
	v_add_co_ci_u32_e64 v4, null, 0, -1, s0
	v_and_b32_e32 v0, 0xff, v2
	s_delay_alu instid0(VALU_DEP_4)
	v_and_b32_e32 v1, 0xff, v6
	v_cmp_gt_u16_e64 s0, 17, v255
	v_add_nc_u16 v8, v255, 0x66
	v_add_nc_u16 v9, v255, 0x88
	v_mul_lo_u16 v0, 0xf1, v0
	v_mul_lo_u16 v1, 0xf1, v1
	v_cndmask_b32_e64 v4, v4, 0, s0
	v_cndmask_b32_e64 v3, v3, v255, s0
	v_add_nc_u16 v11, v255, 0xaa
	v_lshrrev_b16 v0, 12, v0
	v_lshrrev_b16 v1, 12, v1
	v_and_b32_e32 v13, 0xff, v8
	v_add_nc_u16 v12, v255, 0xcc
	v_and_b32_e32 v14, 0xff, v9
	v_mul_lo_u16 v5, v0, 17
	v_mul_lo_u16 v10, v1, 17
	v_add_co_u32 v7, null, 0xee, v255
	s_load_b128 s[4:7], s[4:5], 0x0
	s_delay_alu instid0(VALU_DEP_3)
	v_sub_nc_u16 v2, v2, v5
	v_lshlrev_b64 v[4:5], 4, v[3:4]
	v_sub_nc_u16 v6, v6, v10
	s_waitcnt lgkmcnt(0)
	s_barrier
	v_and_b32_e32 v10, 0xff, v2
	buffer_gl0_inv
	v_add_co_u32 v4, s0, s2, v4
	s_delay_alu instid0(VALU_DEP_1)
	v_add_co_ci_u32_e64 v5, s0, s3, v5, s0
	v_lshlrev_b32_e32 v10, 4, v10
	v_and_b32_e32 v15, 0xffff, v7
	s_clause 0x1
	global_load_b128 v[23:26], v[4:5], off
	global_load_b128 v[19:22], v10, s[2:3]
	v_mul_lo_u16 v5, 0xf1, v13
	v_and_b32_e32 v10, 0xff, v11
	v_mul_lo_u16 v13, 0xf1, v14
	v_and_b32_e32 v14, 0xff, v12
	v_mul_u32_u24_e32 v15, 0xf0f1, v15
	v_lshrrev_b16 v5, 12, v5
	v_mul_lo_u16 v10, 0xf1, v10
	v_lshrrev_b16 v13, 12, v13
	v_mul_lo_u16 v14, 0xf1, v14
	v_lshrrev_b32_e32 v15, 20, v15
	v_mul_lo_u16 v16, v5, 17
	v_lshrrev_b16 v10, 12, v10
	v_mul_lo_u16 v17, v13, 17
	v_lshrrev_b16 v14, 12, v14
	v_mul_lo_u16 v18, v15, 17
	v_sub_nc_u16 v8, v8, v16
	v_mul_lo_u16 v16, v10, 17
	v_sub_nc_u16 v9, v9, v17
	v_mul_lo_u16 v17, v14, 17
	v_and_b32_e32 v6, 0xff, v6
	v_and_b32_e32 v8, 0xff, v8
	v_sub_nc_u16 v11, v11, v16
	v_and_b32_e32 v9, 0xff, v9
	v_sub_nc_u16 v12, v12, v17
	v_sub_nc_u16 v7, v7, v18
	v_lshlrev_b32_e32 v4, 4, v6
	v_lshlrev_b32_e32 v16, 4, v8
	v_and_b32_e32 v11, 0xff, v11
	v_and_b32_e32 v12, 0xff, v12
	v_lshlrev_b32_e32 v17, 4, v9
	v_and_b32_e32 v18, 0xffff, v7
	s_clause 0x1
	global_load_b128 v[100:103], v4, s[2:3]
	global_load_b128 v[104:107], v16, s[2:3]
	v_lshlrev_b32_e32 v4, 4, v11
	v_lshlrev_b32_e32 v16, 4, v12
	global_load_b128 v[108:111], v17, s[2:3]
	v_lshlrev_b32_e32 v17, 4, v18
	s_clause 0x2
	global_load_b128 v[112:115], v4, s[2:3]
	global_load_b128 v[31:34], v16, s[2:3]
	;; [unrolled: 1-line block ×3, first 2 shown]
	v_add_lshl_u32 v178, v168, v255, 4
	ds_load_b128 v[36:39], v178 offset:4352
	ds_load_b128 v[40:43], v178 offset:4896
	;; [unrolled: 1-line block ×8, first 2 shown]
	v_cmp_lt_u16_e64 s0, 16, v255
	v_and_b32_e32 v1, 0xffff, v1
	v_mad_u16 v0, v0, 34, v2
	v_mad_u16 v7, v15, 34, v7
	s_mov_b32 s10, 0xcf328d46
	v_cndmask_b32_e64 v4, 0, 34, s0
	v_mul_u32_u24_e32 v1, 34, v1
	v_and_b32_e32 v0, 0xff, v0
	s_mov_b32 s0, 0x667f3bcd
	s_mov_b32 s1, 0xbfe6a09e
	v_add_nc_u32_e32 v3, v3, v4
	v_and_b32_e32 v4, 0xffff, v13
	v_add_nc_u32_e32 v1, v1, v6
	v_and_b32_e32 v6, 0xffff, v7
	s_mov_b32 s14, 0xa6aea964
	v_add_lshl_u32 v16, v168, v3, 4
	v_and_b32_e32 v3, 0xffff, v5
	v_and_b32_e32 v5, 0xffff, v10
	;; [unrolled: 1-line block ×3, first 2 shown]
	v_mul_u32_u24_e32 v2, 34, v4
	v_add_lshl_u32 v7, v168, v1, 4
	v_mul_u32_u24_e32 v3, 34, v3
	v_mul_u32_u24_e32 v4, 34, v5
	;; [unrolled: 1-line block ×3, first 2 shown]
	v_add_nc_u32_e32 v2, v2, v9
	v_add_lshl_u32 v176, v168, v6, 4
	v_add_nc_u32_e32 v3, v3, v8
	v_add_nc_u32_e32 v4, v4, v11
	v_add_nc_u32_e32 v5, v5, v12
	v_add_lshl_u32 v8, v168, v0, 4
	v_add_lshl_u32 v2, v168, v2, 4
	;; [unrolled: 1-line block ×5, first 2 shown]
	s_mov_b32 s11, 0xbfed906b
	s_mov_b32 s15, 0xbfd87de2
	;; [unrolled: 1-line block ×6, first 2 shown]
	v_lshl_add_u32 v177, v255, 4, v253
	s_waitcnt vmcnt(7) lgkmcnt(7)
	v_mul_f64 v[68:69], v[38:39], v[25:26]
	v_mul_f64 v[70:71], v[36:37], v[25:26]
	s_waitcnt vmcnt(6) lgkmcnt(6)
	v_mul_f64 v[72:73], v[42:43], v[21:22]
	v_mul_f64 v[74:75], v[40:41], v[21:22]
	s_clause 0x1
	scratch_store_b128 off, v[23:26], off offset:16
	scratch_store_b128 off, v[19:22], off
	s_waitcnt vmcnt(5) lgkmcnt(5)
	v_mul_f64 v[76:77], v[46:47], v[102:103]
	v_mul_f64 v[78:79], v[44:45], v[102:103]
	s_waitcnt vmcnt(4) lgkmcnt(4)
	v_mul_f64 v[80:81], v[50:51], v[106:107]
	v_mul_f64 v[82:83], v[48:49], v[106:107]
	;; [unrolled: 3-line block ×6, first 2 shown]
	v_fma_f64 v[68:69], v[36:37], v[23:24], -v[68:69]
	v_fma_f64 v[70:71], v[38:39], v[23:24], v[70:71]
	v_fma_f64 v[72:73], v[40:41], v[19:20], -v[72:73]
	v_fma_f64 v[74:75], v[42:43], v[19:20], v[74:75]
	s_clause 0x5
	scratch_store_b128 off, v[100:103], off offset:64
	scratch_store_b128 off, v[104:107], off offset:80
	;; [unrolled: 1-line block ×6, first 2 shown]
	v_fma_f64 v[76:77], v[44:45], v[100:101], -v[76:77]
	v_fma_f64 v[78:79], v[46:47], v[100:101], v[78:79]
	v_fma_f64 v[80:81], v[48:49], v[104:105], -v[80:81]
	v_fma_f64 v[82:83], v[50:51], v[104:105], v[82:83]
	;; [unrolled: 2-line block ×6, first 2 shown]
	ds_load_b128 v[36:39], v178
	ds_load_b128 v[40:43], v178 offset:544
	ds_load_b128 v[44:47], v178 offset:1088
	;; [unrolled: 1-line block ×7, first 2 shown]
	v_mad_u64_u32 v[100:101], null, 0xf0, v255, s[2:3]
	s_waitcnt lgkmcnt(0)
	s_waitcnt_vscnt null, 0x0
	s_barrier
	buffer_gl0_inv
	scratch_store_b32 off, v16, off offset:344 ; 4-byte Folded Spill
	s_mov_b32 s3, 0x3fe6a09e
	s_mov_b32 s2, s0
	v_add_f64 v[68:69], v[36:37], -v[68:69]
	v_add_f64 v[70:71], v[38:39], -v[70:71]
	;; [unrolled: 1-line block ×16, first 2 shown]
	v_fma_f64 v[36:37], v[36:37], 2.0, -v[68:69]
	v_fma_f64 v[38:39], v[38:39], 2.0, -v[70:71]
	;; [unrolled: 1-line block ×16, first 2 shown]
	ds_store_b128 v16, v[36:39]
	ds_store_b128 v16, v[68:71] offset:272
	ds_store_b128 v8, v[40:43]
	scratch_store_b32 off, v8, off offset:364 ; 4-byte Folded Spill
	ds_store_b128 v8, v[72:75] offset:272
	ds_store_b128 v7, v[44:47]
	scratch_store_b32 off, v7, off offset:356 ; 4-byte Folded Spill
	;; [unrolled: 3-line block ×6, first 2 shown]
	ds_store_b128 v0, v[92:95] offset:272
	ds_store_b128 v176, v[64:67]
	ds_store_b128 v176, v[96:99] offset:272
	s_waitcnt lgkmcnt(0)
	s_waitcnt_vscnt null, 0x0
	s_barrier
	buffer_gl0_inv
	s_clause 0xe
	global_load_b128 v[16:19], v[100:101], off offset:272
	global_load_b128 v[12:15], v[100:101], off offset:288
	;; [unrolled: 1-line block ×15, first 2 shown]
	ds_load_b128 v[0:3], v178 offset:544
	ds_load_b128 v[96:99], v178 offset:1088
	;; [unrolled: 1-line block ×15, first 2 shown]
	s_waitcnt vmcnt(14) lgkmcnt(14)
	v_mul_f64 v[152:153], v[2:3], v[18:19]
	v_mul_f64 v[154:155], v[0:1], v[18:19]
	s_waitcnt vmcnt(13) lgkmcnt(13)
	v_mul_f64 v[156:157], v[98:99], v[14:15]
	v_mul_f64 v[158:159], v[96:97], v[14:15]
	;; [unrolled: 3-line block ×9, first 2 shown]
	s_waitcnt vmcnt(5)
	v_mul_f64 v[191:192], v[130:131], v[42:43]
	v_mul_f64 v[193:194], v[128:129], v[42:43]
	s_waitcnt vmcnt(4) lgkmcnt(1)
	v_mul_f64 v[195:196], v[146:147], v[54:55]
	v_mul_f64 v[197:198], v[144:145], v[54:55]
	s_waitcnt vmcnt(3)
	v_mul_f64 v[199:200], v[126:127], v[46:47]
	v_mul_f64 v[201:202], v[124:125], v[46:47]
	s_waitcnt vmcnt(2)
	v_mul_f64 v[203:204], v[142:143], v[94:95]
	v_mul_f64 v[205:206], v[140:141], v[94:95]
	s_waitcnt vmcnt(1)
	v_mul_f64 v[207:208], v[134:135], v[90:91]
	v_mul_f64 v[209:210], v[132:133], v[90:91]
	s_waitcnt vmcnt(0) lgkmcnt(0)
	v_mul_f64 v[211:212], v[148:149], v[50:51]
	v_mul_f64 v[213:214], v[150:151], v[50:51]
	s_clause 0x1
	scratch_store_b128 off, v[8:11], off offset:144
	scratch_store_b128 off, v[4:7], off offset:128
	v_lshl_add_u32 v6, v255, 4, v253
	s_clause 0x5
	scratch_store_b128 off, v[16:19], off offset:176
	scratch_store_b128 off, v[12:15], off offset:160
	;; [unrolled: 1-line block ×6, first 2 shown]
	v_fma_f64 v[152:153], v[0:1], v[16:17], -v[152:153]
	v_fma_f64 v[154:155], v[2:3], v[16:17], v[154:155]
	v_fma_f64 v[96:97], v[96:97], v[12:13], -v[156:157]
	v_fma_f64 v[98:99], v[98:99], v[12:13], v[158:159]
	;; [unrolled: 2-line block ×14, first 2 shown]
	v_fma_f64 v[150:151], v[150:151], v[48:49], v[211:212]
	v_fma_f64 v[148:149], v[148:149], v[48:49], -v[213:214]
	ds_load_b128 v[0:3], v178
	s_clause 0x4
	scratch_store_b128 off, v[36:39], off offset:256
	scratch_store_b128 off, v[40:43], off offset:272
	;; [unrolled: 1-line block ×5, first 2 shown]
	s_waitcnt lgkmcnt(0)
	v_add_f64 v[120:121], v[0:1], -v[120:121]
	v_add_f64 v[122:123], v[2:3], -v[122:123]
	;; [unrolled: 1-line block ×16, first 2 shown]
	v_fma_f64 v[0:1], v[0:1], 2.0, -v[120:121]
	v_fma_f64 v[2:3], v[2:3], 2.0, -v[122:123]
	v_add_f64 v[158:159], v[122:123], v[136:137]
	v_add_f64 v[156:157], v[120:121], -v[138:139]
	v_fma_f64 v[104:105], v[104:105], 2.0, -v[136:137]
	v_fma_f64 v[106:107], v[106:107], 2.0, -v[138:139]
	v_add_f64 v[162:163], v[130:131], v[144:145]
	v_add_f64 v[160:161], v[128:129], -v[146:147]
	;; [unrolled: 4-line block ×3, first 2 shown]
	v_fma_f64 v[112:113], v[112:113], 2.0, -v[144:145]
	v_fma_f64 v[114:115], v[114:115], 2.0, -v[146:147]
	v_add_f64 v[168:169], v[132:133], -v[150:151]
	v_add_f64 v[170:171], v[134:135], v[148:149]
	v_fma_f64 v[136:137], v[152:153], 2.0, -v[124:125]
	v_fma_f64 v[138:139], v[154:155], 2.0, -v[126:127]
	;; [unrolled: 1-line block ×10, first 2 shown]
	v_add_f64 v[104:105], v[0:1], -v[104:105]
	v_add_f64 v[106:107], v[2:3], -v[106:107]
	v_fma_f64 v[130:131], v[130:131], 2.0, -v[162:163]
	v_fma_f64 v[128:129], v[128:129], 2.0, -v[160:161]
	v_fma_f64 v[140:141], v[160:161], s[2:3], v[156:157]
	v_fma_f64 v[142:143], v[162:163], s[2:3], v[158:159]
	v_fma_f64 v[126:127], v[126:127], 2.0, -v[166:167]
	v_fma_f64 v[124:125], v[124:125], 2.0, -v[164:165]
	v_add_f64 v[112:113], v[96:97], -v[112:113]
	v_add_f64 v[114:115], v[98:99], -v[114:115]
	v_fma_f64 v[132:133], v[132:133], 2.0, -v[168:169]
	v_fma_f64 v[134:135], v[134:135], 2.0, -v[170:171]
	v_fma_f64 v[144:145], v[168:169], s[2:3], v[164:165]
	v_fma_f64 v[146:147], v[170:171], s[2:3], v[166:167]
	v_add_f64 v[108:109], v[136:137], -v[108:109]
	v_add_f64 v[110:111], v[138:139], -v[110:111]
	;; [unrolled: 1-line block ×4, first 2 shown]
	v_fma_f64 v[0:1], v[0:1], 2.0, -v[104:105]
	v_fma_f64 v[2:3], v[2:3], 2.0, -v[106:107]
	v_fma_f64 v[150:151], v[130:131], s[0:1], v[122:123]
	v_fma_f64 v[148:149], v[128:129], s[0:1], v[120:121]
	;; [unrolled: 1-line block ×4, first 2 shown]
	v_fma_f64 v[96:97], v[96:97], 2.0, -v[112:113]
	v_fma_f64 v[98:99], v[98:99], 2.0, -v[114:115]
	v_fma_f64 v[152:153], v[132:133], s[0:1], v[124:125]
	v_fma_f64 v[154:155], v[134:135], s[0:1], v[126:127]
	;; [unrolled: 1-line block ×4, first 2 shown]
	v_fma_f64 v[136:137], v[136:137], 2.0, -v[108:109]
	v_fma_f64 v[138:139], v[138:139], 2.0, -v[110:111]
	v_add_f64 v[168:169], v[104:105], -v[114:115]
	v_add_f64 v[170:171], v[106:107], v[112:113]
	v_fma_f64 v[100:101], v[100:101], 2.0, -v[116:117]
	v_fma_f64 v[102:103], v[102:103], 2.0, -v[118:119]
	v_add_f64 v[112:113], v[108:109], -v[118:119]
	v_add_f64 v[114:115], v[110:111], v[116:117]
	v_fma_f64 v[174:175], v[128:129], s[2:3], v[150:151]
	v_fma_f64 v[172:173], v[130:131], s[0:1], v[148:149]
	v_fma_f64 v[148:149], v[156:157], 2.0, -v[162:163]
	v_fma_f64 v[150:151], v[158:159], 2.0, -v[160:161]
	v_add_f64 v[116:117], v[0:1], -v[96:97]
	v_fma_f64 v[118:119], v[134:135], s[0:1], v[152:153]
	v_fma_f64 v[132:133], v[132:133], s[2:3], v[154:155]
	v_add_f64 v[134:135], v[2:3], -v[98:99]
	v_fma_f64 v[144:145], v[164:165], 2.0, -v[140:141]
	v_fma_f64 v[146:147], v[166:167], 2.0, -v[142:143]
	v_fma_f64 v[179:180], v[140:141], s[18:19], v[162:163]
	v_fma_f64 v[152:153], v[104:105], 2.0, -v[168:169]
	v_fma_f64 v[154:155], v[106:107], 2.0, -v[170:171]
	v_add_f64 v[96:97], v[136:137], -v[100:101]
	v_add_f64 v[98:99], v[138:139], -v[102:103]
	v_fma_f64 v[156:157], v[108:109], 2.0, -v[112:113]
	v_fma_f64 v[100:101], v[112:113], s[2:3], v[168:169]
	v_fma_f64 v[102:103], v[114:115], s[2:3], v[170:171]
	;; [unrolled: 1-line block ×3, first 2 shown]
	v_fma_f64 v[164:165], v[122:123], 2.0, -v[174:175]
	v_fma_f64 v[158:159], v[120:121], 2.0, -v[172:173]
	;; [unrolled: 1-line block ×7, first 2 shown]
	v_fma_f64 v[126:127], v[144:145], s[14:15], v[148:149]
	v_fma_f64 v[166:167], v[132:133], s[16:17], v[174:175]
	v_fma_f64 v[104:105], v[136:137], 2.0, -v[96:97]
	v_fma_f64 v[106:107], v[138:139], 2.0, -v[98:99]
	v_fma_f64 v[136:137], v[146:147], s[14:15], v[150:151]
	v_fma_f64 v[138:139], v[118:119], s[16:17], v[172:173]
	;; [unrolled: 1-line block ×3, first 2 shown]
	v_add_f64 v[108:109], v[116:117], -v[98:99]
	v_add_f64 v[110:111], v[134:135], v[96:97]
	v_fma_f64 v[100:101], v[114:115], s[0:1], v[100:101]
	v_fma_f64 v[102:103], v[112:113], s[2:3], v[102:103]
	;; [unrolled: 1-line block ×8, first 2 shown]
	v_add_f64 v[128:129], v[0:1], -v[104:105]
	v_add_f64 v[130:131], v[2:3], -v[106:107]
	v_fma_f64 v[114:115], v[144:145], s[18:19], v[136:137]
	v_fma_f64 v[104:105], v[132:133], s[10:11], v[138:139]
	;; [unrolled: 1-line block ×4, first 2 shown]
	v_fma_f64 v[144:145], v[116:117], 2.0, -v[108:109]
	v_fma_f64 v[146:147], v[134:135], 2.0, -v[110:111]
	;; [unrolled: 1-line block ×6, first 2 shown]
	v_fma_f64 v[124:125], v[124:125], s[14:15], v[185:186]
	v_fma_f64 v[126:127], v[122:123], s[16:17], v[187:188]
	;; [unrolled: 1-line block ×3, first 2 shown]
	v_fma_f64 v[148:149], v[148:149], 2.0, -v[112:113]
	v_fma_f64 v[116:117], v[0:1], 2.0, -v[128:129]
	;; [unrolled: 1-line block ×10, first 2 shown]
	ds_store_b128 v6, v[116:119]
	ds_store_b128 v177, v[148:151] offset:1632
	ds_store_b128 v177, v[144:147] offset:2176
	;; [unrolled: 1-line block ×15, first 2 shown]
	s_waitcnt lgkmcnt(0)
	s_waitcnt_vscnt null, 0x0
	s_barrier
	buffer_gl0_inv
	s_and_saveexec_b32 s2, vcc_lo
	s_cbranch_execz .LBB0_9
; %bb.8:
	s_add_u32 s0, s8, 0x2200
	s_addc_u32 s1, s9, 0
	v_or_b32_e32 v4, 0x2000, v250
	s_clause 0x3
	global_load_b128 v[160:163], v250, s[0:1]
	global_load_b128 v[164:167], v250, s[0:1] offset:512
	global_load_b128 v[168:171], v250, s[0:1] offset:1024
	;; [unrolled: 1-line block ×3, first 2 shown]
	ds_load_b128 v[0:3], v242
	v_or_b32_e32 v5, 0x1600, v250
	global_load_b128 v[179:182], v4, s[0:1]
	v_or_b32_e32 v4, 0x1000, v250
	s_waitcnt vmcnt(4) lgkmcnt(0)
	v_mul_f64 v[183:184], v[2:3], v[162:163]
	v_mul_f64 v[162:163], v[0:1], v[162:163]
	s_delay_alu instid0(VALU_DEP_2) | instskip(NEXT) | instid1(VALU_DEP_2)
	v_fma_f64 v[0:1], v[0:1], v[160:161], -v[183:184]
	v_fma_f64 v[2:3], v[2:3], v[160:161], v[162:163]
	ds_store_b128 v242, v[0:3]
	ds_load_b128 v[0:3], v177 offset:512
	ds_load_b128 v[160:163], v177 offset:1024
	global_load_b128 v[183:186], v250, s[0:1] offset:2048
	s_waitcnt vmcnt(4) lgkmcnt(1)
	v_mul_f64 v[187:188], v[2:3], v[166:167]
	v_mul_f64 v[166:167], v[0:1], v[166:167]
	s_waitcnt vmcnt(3) lgkmcnt(0)
	v_mul_f64 v[191:192], v[162:163], v[170:171]
	v_mul_f64 v[170:171], v[160:161], v[170:171]
	s_delay_alu instid0(VALU_DEP_4) | instskip(NEXT) | instid1(VALU_DEP_4)
	v_fma_f64 v[0:1], v[0:1], v[164:165], -v[187:188]
	v_fma_f64 v[2:3], v[2:3], v[164:165], v[166:167]
	ds_load_b128 v[164:167], v177 offset:1536
	ds_load_b128 v[187:190], v177 offset:2048
	v_fma_f64 v[160:161], v[160:161], v[168:169], -v[191:192]
	v_fma_f64 v[162:163], v[162:163], v[168:169], v[170:171]
	global_load_b128 v[168:171], v250, s[0:1] offset:2560
	s_waitcnt vmcnt(3) lgkmcnt(1)
	v_mul_f64 v[193:194], v[166:167], v[174:175]
	v_mul_f64 v[174:175], v[164:165], v[174:175]
	s_delay_alu instid0(VALU_DEP_2) | instskip(NEXT) | instid1(VALU_DEP_2)
	v_fma_f64 v[164:165], v[164:165], v[172:173], -v[193:194]
	v_fma_f64 v[166:167], v[166:167], v[172:173], v[174:175]
	global_load_b128 v[172:175], v250, s[0:1] offset:3072
	s_waitcnt vmcnt(2) lgkmcnt(0)
	v_mul_f64 v[191:192], v[189:190], v[185:186]
	v_mul_f64 v[193:194], v[187:188], v[185:186]
	s_delay_alu instid0(VALU_DEP_2) | instskip(NEXT) | instid1(VALU_DEP_2)
	v_fma_f64 v[185:186], v[187:188], v[183:184], -v[191:192]
	v_fma_f64 v[187:188], v[189:190], v[183:184], v[193:194]
	ds_load_b128 v[189:192], v177 offset:2560
	ds_load_b128 v[193:196], v177 offset:3072
	s_waitcnt vmcnt(1) lgkmcnt(1)
	v_mul_f64 v[183:184], v[191:192], v[170:171]
	v_mul_f64 v[170:171], v[189:190], v[170:171]
	s_delay_alu instid0(VALU_DEP_2) | instskip(NEXT) | instid1(VALU_DEP_2)
	v_fma_f64 v[189:190], v[189:190], v[168:169], -v[183:184]
	v_fma_f64 v[191:192], v[191:192], v[168:169], v[170:171]
	s_waitcnt vmcnt(0) lgkmcnt(0)
	v_mul_f64 v[168:169], v[195:196], v[174:175]
	v_mul_f64 v[170:171], v[193:194], v[174:175]
	s_delay_alu instid0(VALU_DEP_2) | instskip(NEXT) | instid1(VALU_DEP_2)
	v_fma_f64 v[168:169], v[193:194], v[172:173], -v[168:169]
	v_fma_f64 v[170:171], v[195:196], v[172:173], v[170:171]
	global_load_b128 v[172:175], v250, s[0:1] offset:3584
	ds_load_b128 v[193:196], v177 offset:3584
	ds_load_b128 v[197:200], v177 offset:4096
	s_waitcnt vmcnt(0) lgkmcnt(1)
	v_mul_f64 v[183:184], v[195:196], v[174:175]
	v_mul_f64 v[174:175], v[193:194], v[174:175]
	s_delay_alu instid0(VALU_DEP_2) | instskip(NEXT) | instid1(VALU_DEP_2)
	v_fma_f64 v[193:194], v[193:194], v[172:173], -v[183:184]
	v_fma_f64 v[195:196], v[195:196], v[172:173], v[174:175]
	global_load_b128 v[172:175], v4, s[0:1]
	v_or_b32_e32 v4, 0x1200, v250
	global_load_b128 v[201:204], v4, s[0:1]
	v_or_b32_e32 v4, 0x1400, v250
	s_waitcnt vmcnt(1) lgkmcnt(0)
	v_mul_f64 v[183:184], v[199:200], v[174:175]
	v_mul_f64 v[174:175], v[197:198], v[174:175]
	s_delay_alu instid0(VALU_DEP_2) | instskip(NEXT) | instid1(VALU_DEP_2)
	v_fma_f64 v[197:198], v[197:198], v[172:173], -v[183:184]
	v_fma_f64 v[199:200], v[199:200], v[172:173], v[174:175]
	ds_load_b128 v[172:175], v177 offset:4608
	ds_load_b128 v[205:208], v177 offset:5120
	s_waitcnt vmcnt(0) lgkmcnt(1)
	v_mul_f64 v[183:184], v[174:175], v[203:204]
	v_mul_f64 v[203:204], v[172:173], v[203:204]
	s_delay_alu instid0(VALU_DEP_2) | instskip(NEXT) | instid1(VALU_DEP_2)
	v_fma_f64 v[172:173], v[172:173], v[201:202], -v[183:184]
	v_fma_f64 v[174:175], v[174:175], v[201:202], v[203:204]
	s_clause 0x1
	global_load_b128 v[201:204], v4, s[0:1]
	global_load_b128 v[209:212], v5, s[0:1]
	v_or_b32_e32 v4, 0x1800, v250
	v_or_b32_e32 v5, 0x1a00, v250
	s_waitcnt vmcnt(1) lgkmcnt(0)
	v_mul_f64 v[183:184], v[207:208], v[203:204]
	v_mul_f64 v[213:214], v[205:206], v[203:204]
	s_delay_alu instid0(VALU_DEP_2) | instskip(NEXT) | instid1(VALU_DEP_2)
	v_fma_f64 v[203:204], v[205:206], v[201:202], -v[183:184]
	v_fma_f64 v[205:206], v[207:208], v[201:202], v[213:214]
	ds_load_b128 v[213:216], v177 offset:5632
	ds_load_b128 v[217:220], v177 offset:6144
	s_waitcnt vmcnt(0) lgkmcnt(1)
	v_mul_f64 v[183:184], v[215:216], v[211:212]
	v_mul_f64 v[201:202], v[213:214], v[211:212]
	s_delay_alu instid0(VALU_DEP_2)
	v_fma_f64 v[207:208], v[213:214], v[209:210], -v[183:184]
	s_clause 0x1
	global_load_b128 v[211:214], v4, s[0:1]
	global_load_b128 v[221:224], v5, s[0:1]
	v_fma_f64 v[209:210], v[215:216], v[209:210], v[201:202]
	v_or_b32_e32 v4, 0x1c00, v250
	v_or_b32_e32 v5, 0x1e00, v250
	s_waitcnt vmcnt(1) lgkmcnt(0)
	v_mul_f64 v[183:184], v[219:220], v[213:214]
	v_mul_f64 v[201:202], v[217:218], v[213:214]
	s_delay_alu instid0(VALU_DEP_2) | instskip(NEXT) | instid1(VALU_DEP_2)
	v_fma_f64 v[213:214], v[217:218], v[211:212], -v[183:184]
	v_fma_f64 v[215:216], v[219:220], v[211:212], v[201:202]
	ds_load_b128 v[217:220], v177 offset:6656
	ds_load_b128 v[225:228], v177 offset:7168
	s_waitcnt vmcnt(0) lgkmcnt(1)
	v_mul_f64 v[183:184], v[219:220], v[223:224]
	v_mul_f64 v[201:202], v[217:218], v[223:224]
	s_delay_alu instid0(VALU_DEP_2) | instskip(NEXT) | instid1(VALU_DEP_2)
	v_fma_f64 v[217:218], v[217:218], v[221:222], -v[183:184]
	v_fma_f64 v[219:220], v[219:220], v[221:222], v[201:202]
	s_clause 0x1
	global_load_b128 v[221:224], v4, s[0:1]
	global_load_b128 v[229:232], v5, s[0:1]
	ds_load_b128 v[233:236], v177 offset:7680
	ds_load_b128 v[237:240], v177 offset:8192
	s_waitcnt vmcnt(1) lgkmcnt(2)
	v_mul_f64 v[183:184], v[227:228], v[223:224]
	v_mul_f64 v[201:202], v[225:226], v[223:224]
	s_delay_alu instid0(VALU_DEP_2) | instskip(NEXT) | instid1(VALU_DEP_2)
	v_fma_f64 v[223:224], v[225:226], v[221:222], -v[183:184]
	v_fma_f64 v[225:226], v[227:228], v[221:222], v[201:202]
	s_waitcnt vmcnt(0) lgkmcnt(1)
	v_mul_f64 v[183:184], v[235:236], v[231:232]
	v_mul_f64 v[201:202], v[233:234], v[231:232]
	s_delay_alu instid0(VALU_DEP_2) | instskip(NEXT) | instid1(VALU_DEP_2)
	v_fma_f64 v[227:228], v[233:234], v[229:230], -v[183:184]
	v_fma_f64 v[229:230], v[235:236], v[229:230], v[201:202]
	s_waitcnt lgkmcnt(0)
	v_mul_f64 v[183:184], v[239:240], v[181:182]
	v_mul_f64 v[201:202], v[237:238], v[181:182]
	s_delay_alu instid0(VALU_DEP_2) | instskip(NEXT) | instid1(VALU_DEP_2)
	v_fma_f64 v[181:182], v[237:238], v[179:180], -v[183:184]
	v_fma_f64 v[183:184], v[239:240], v[179:180], v[201:202]
	ds_store_b128 v177, v[0:3] offset:512
	ds_store_b128 v177, v[160:163] offset:1024
	;; [unrolled: 1-line block ×16, first 2 shown]
.LBB0_9:
	s_or_b32 exec_lo, exec_lo, s2
	s_waitcnt lgkmcnt(0)
	s_barrier
	buffer_gl0_inv
	s_and_saveexec_b32 s0, vcc_lo
	s_cbranch_execz .LBB0_11
; %bb.10:
	ds_load_b128 v[116:119], v242
	ds_load_b128 v[156:159], v6 offset:512
	ds_load_b128 v[152:155], v6 offset:1024
	;; [unrolled: 1-line block ×16, first 2 shown]
.LBB0_11:
	s_or_b32 exec_lo, exec_lo, s0
	scratch_store_b32 off, v6, off offset:360 ; 4-byte Folded Spill
	s_waitcnt lgkmcnt(0)
	s_waitcnt_vscnt null, 0x0
	s_barrier
	buffer_gl0_inv
	s_and_saveexec_b32 s33, vcc_lo
	s_cbranch_execz .LBB0_13
; %bb.12:
	v_dual_mov_b32 v185, v245 :: v_dual_mov_b32 v186, v246
	v_dual_mov_b32 v187, v247 :: v_dual_mov_b32 v188, v248
	s_mov_b32 s22, 0xacd6c6b4
	s_mov_b32 s23, 0xbfc7851a
	s_delay_alu instid0(VALU_DEP_2)
	v_add_f64 v[223:224], v[156:157], -v[185:186]
	v_add_f64 v[34:35], v[128:129], -v[124:125]
	;; [unrolled: 1-line block ×4, first 2 shown]
	v_add_f64 v[213:214], v[187:188], v[158:159]
	v_add_f64 v[215:216], v[185:186], v[156:157]
	v_add_f64 v[10:11], v[130:131], -v[126:127]
	s_mov_b32 s54, 0xeb564b22
	s_mov_b32 s42, 0x923c349f
	;; [unrolled: 1-line block ×8, first 2 shown]
	v_add_f64 v[6:7], v[132:133], -v[120:121]
	v_add_f64 v[219:220], v[154:155], -v[98:99]
	;; [unrolled: 1-line block ×3, first 2 shown]
	v_add_f64 v[205:206], v[98:99], v[154:155]
	v_add_f64 v[247:248], v[116:117], v[156:157]
	s_mov_b32 s36, 0x6c9a05f6
	s_mov_b32 s44, 0x2a9d6da3
	;; [unrolled: 1-line block ×10, first 2 shown]
	v_add_f64 v[199:200], v[144:145], -v[104:105]
	v_add_f64 v[197:198], v[102:103], v[150:151]
	v_add_f64 v[209:210], v[96:97], v[152:153]
	s_clause 0x1
	scratch_store_b64 off, v[241:242], off offset:368
	scratch_store_b32 off, v242, off offset:376
	s_mov_b32 s30, 0x7c9e640b
	s_mov_b32 s16, 0x6ed5f1bb
	;; [unrolled: 1-line block ×4, first 2 shown]
	v_mul_f64 v[2:3], v[223:224], s[22:23]
	v_mul_f64 v[229:230], v[223:224], s[28:29]
	;; [unrolled: 1-line block ×6, first 2 shown]
	scratch_store_b32 off, v253, off offset:380 ; 4-byte Folded Spill
	v_mul_f64 v[253:254], v[221:222], s[36:37]
	s_mov_b32 s41, 0x3feec746
	s_mov_b32 s40, s42
	v_add_f64 v[193:194], v[140:141], -v[108:109]
	v_add_f64 v[189:190], v[106:107], v[146:147]
	v_add_f64 v[245:246], v[118:119], v[158:159]
	v_mul_f64 v[8:9], v[217:218], s[30:31]
	v_mul_f64 v[52:53], v[217:218], s[40:41]
	;; [unrolled: 1-line block ×5, first 2 shown]
	v_dual_mov_b32 v87, v7 :: v_dual_mov_b32 v86, v6
	s_mov_b32 s20, 0x2b2883cd
	s_mov_b32 s18, 0x75d4884
	;; [unrolled: 1-line block ×6, first 2 shown]
	v_add_f64 v[181:182], v[136:137], -v[112:113]
	v_add_f64 v[179:180], v[110:111], v[142:143]
	v_add_f64 v[152:153], v[152:153], v[247:248]
	v_add_f64 v[211:212], v[150:151], -v[102:103]
	v_mul_f64 v[241:242], v[199:200], s[44:45]
	v_mul_f64 v[225:226], v[221:222], s[28:29]
	v_add_f64 v[170:171], v[138:139], v[114:115]
	v_add_f64 v[44:45], v[134:135], -v[122:123]
	v_add_f64 v[203:204], v[146:147], -v[106:107]
	v_add_f64 v[201:202], v[100:101], v[148:149]
	v_mul_f64 v[14:15], v[223:224], s[42:43]
	v_mul_f64 v[24:25], v[219:220], s[30:31]
	v_fma_f64 v[235:236], v[213:214], s[0:1], v[2:3]
	v_fma_f64 v[239:240], v[213:214], s[0:1], -v[2:3]
	v_fma_f64 v[237:238], v[215:216], s[0:1], -v[233:234]
	v_fma_f64 v[156:157], v[215:216], s[0:1], v[233:234]
	v_mul_f64 v[2:3], v[10:11], s[54:55]
	v_fma_f64 v[12:13], v[213:214], s[10:11], v[229:230]
	v_fma_f64 v[18:19], v[205:206], s[2:3], v[231:232]
	v_fma_f64 v[54:55], v[213:214], s[16:17], v[172:173]
	v_fma_f64 v[58:59], v[215:216], s[16:17], -v[253:254]
	v_fma_f64 v[66:67], v[215:216], s[16:17], v[253:254]
	v_mul_f64 v[4:5], v[193:194], s[36:37]
	v_mul_f64 v[158:159], v[34:35], s[54:55]
	v_add_f64 v[154:155], v[154:155], v[245:246]
	v_fma_f64 v[64:65], v[205:206], s[20:21], v[8:9]
	v_fma_f64 v[247:248], v[205:206], s[24:25], v[52:53]
	v_fma_f64 v[34:35], v[213:214], s[10:11], -v[229:230]
	v_fma_f64 v[30:31], v[209:210], s[2:3], -v[249:250]
	s_mov_b32 s47, 0x3fe0d888
	s_mov_b32 s46, s28
	v_add_f64 v[195:196], v[142:143], -v[110:111]
	v_add_f64 v[191:192], v[104:105], v[144:145]
	v_mul_f64 v[56:57], v[219:220], s[40:41]
	v_mul_f64 v[60:61], v[217:218], s[46:47]
	v_fma_f64 v[172:173], v[213:214], s[16:17], -v[172:173]
	v_mul_f64 v[42:43], v[207:208], s[34:35]
	s_mov_b32 s14, 0x3259b75e
	v_mul_f64 v[0:1], v[181:182], s[30:31]
	s_mov_b32 s15, 0x3fb79ee6
	v_add_f64 v[168:169], v[138:139], -v[114:115]
	v_mul_f64 v[26:27], v[211:212], s[28:29]
	v_mul_f64 v[50:51], v[211:212], s[34:35]
	v_fma_f64 v[28:29], v[215:216], s[10:11], -v[225:226]
	v_fma_f64 v[225:226], v[215:216], s[10:11], v[225:226]
	v_mul_f64 v[233:234], v[44:45], s[42:43]
	v_mul_f64 v[22:23], v[203:204], s[44:45]
	v_dual_mov_b32 v85, v45 :: v_dual_mov_b32 v84, v44
	v_fma_f64 v[68:69], v[213:214], s[24:25], v[14:15]
	v_add_f64 v[20:21], v[118:119], v[235:236]
	scratch_store_b64 off, v[36:37], off offset:384 ; 8-byte Folded Spill
	v_add_f64 v[32:33], v[116:117], v[237:238]
	v_fma_f64 v[36:37], v[205:206], s[2:3], -v[231:232]
	v_add_f64 v[38:39], v[118:119], v[239:240]
	v_mul_f64 v[237:238], v[6:7], s[44:45]
	v_add_f64 v[46:47], v[116:117], v[156:157]
	v_mul_f64 v[156:157], v[6:7], s[22:23]
	v_mul_f64 v[6:7], v[223:224], s[34:35]
	scratch_store_b64 off, v[2:3], off offset:392 ; 8-byte Folded Spill
	v_add_f64 v[253:254], v[118:119], v[12:13]
	v_fma_f64 v[12:13], v[197:198], s[10:11], v[251:252]
	v_fma_f64 v[251:252], v[197:198], s[10:11], -v[251:252]
	v_add_f64 v[54:55], v[118:119], v[54:55]
	v_add_f64 v[154:155], v[150:151], v[154:155]
	v_mul_f64 v[239:240], v[44:45], s[44:45]
	v_fma_f64 v[44:45], v[209:210], s[2:3], v[249:250]
	v_fma_f64 v[72:73], v[209:210], s[20:21], -v[24:25]
	v_fma_f64 v[14:15], v[213:214], s[24:25], -v[14:15]
	v_add_f64 v[34:35], v[118:119], v[34:35]
	v_add_f64 v[183:184], v[108:109], v[140:141]
	s_mov_b32 s51, 0x3fe9895b
	s_mov_b32 s50, s36
	v_mul_f64 v[10:11], v[195:196], s[36:37]
	v_mul_f64 v[16:17], v[221:222], s[42:43]
	;; [unrolled: 1-line block ×3, first 2 shown]
	v_fma_f64 v[24:25], v[209:210], s[20:21], v[24:25]
	v_fma_f64 v[80:81], v[209:210], s[24:25], -v[56:57]
	v_add_f64 v[58:59], v[116:117], v[58:59]
	v_fma_f64 v[74:75], v[201:202], s[10:11], -v[26:27]
	v_fma_f64 v[26:27], v[201:202], s[10:11], v[26:27]
	v_add_f64 v[28:29], v[116:117], v[28:29]
	v_add_f64 v[225:226], v[116:117], v[225:226]
	v_fma_f64 v[52:53], v[205:206], s[24:25], -v[52:53]
	v_fma_f64 v[56:57], v[209:210], s[24:25], v[56:57]
	v_add_f64 v[82:83], v[118:119], v[172:173]
	v_fma_f64 v[172:173], v[205:206], s[10:11], v[60:61]
	v_add_f64 v[66:67], v[116:117], v[66:67]
	v_add_f64 v[20:21], v[18:19], v[20:21]
	v_fma_f64 v[60:61], v[205:206], s[10:11], -v[60:61]
	v_add_f64 v[30:31], v[30:31], v[32:33]
	v_fma_f64 v[32:33], v[205:206], s[20:21], -v[8:9]
	v_add_f64 v[36:37], v[36:37], v[38:39]
	v_mul_f64 v[8:9], v[207:208], s[38:39]
	v_mul_f64 v[38:39], v[199:200], s[28:29]
	;; [unrolled: 1-line block ×3, first 2 shown]
	scratch_store_b64 off, v[6:7], off offset:408 ; 8-byte Folded Spill
	v_mul_f64 v[48:49], v[203:204], s[50:51]
	v_add_f64 v[64:65], v[64:65], v[253:254]
	v_add_f64 v[68:69], v[118:119], v[68:69]
	;; [unrolled: 1-line block ×7, first 2 shown]
	v_mul_f64 v[46:47], v[207:208], s[44:45]
	v_add_f64 v[14:15], v[118:119], v[14:15]
	s_mov_b32 s49, 0xbfeca52d
	s_mov_b32 s48, s30
	v_mul_f64 v[2:3], v[168:169], s[30:31]
	v_mul_f64 v[235:236], v[193:194], s[38:39]
	;; [unrolled: 1-line block ×3, first 2 shown]
	v_fma_f64 v[70:71], v[215:216], s[24:25], -v[16:17]
	v_fma_f64 v[78:79], v[215:216], s[24:25], v[16:17]
	v_dual_mov_b32 v16, v86 :: v_dual_mov_b32 v17, v87
	v_add_f64 v[58:59], v[80:81], v[58:59]
	v_fma_f64 v[80:81], v[201:202], s[2:3], -v[76:77]
	v_fma_f64 v[76:77], v[201:202], s[2:3], v[76:77]
	v_add_f64 v[72:73], v[72:73], v[28:29]
	v_fma_f64 v[28:29], v[191:192], s[18:19], -v[22:23]
	v_fma_f64 v[22:23], v[191:192], s[18:19], v[22:23]
	v_add_f64 v[24:25], v[24:25], v[225:226]
	v_mul_f64 v[225:226], v[203:204], s[28:29]
	v_add_f64 v[52:53], v[52:53], v[82:83]
	v_add_f64 v[56:57], v[56:57], v[66:67]
	;; [unrolled: 1-line block ×3, first 2 shown]
	v_fma_f64 v[12:13], v[189:190], s[18:19], v[241:242]
	v_fma_f64 v[241:242], v[189:190], s[18:19], -v[241:242]
	v_add_f64 v[74:75], v[74:75], v[30:31]
	v_add_f64 v[251:252], v[251:252], v[36:37]
	v_fma_f64 v[247:248], v[197:198], s[2:3], v[8:9]
	v_fma_f64 v[30:31], v[197:198], s[14:15], v[42:43]
	v_add_f64 v[34:35], v[32:33], v[34:35]
	v_fma_f64 v[32:33], v[201:202], s[14:15], -v[50:51]
	v_fma_f64 v[50:51], v[201:202], s[14:15], v[50:51]
	v_fma_f64 v[8:9], v[197:198], s[2:3], -v[8:9]
	v_mul_f64 v[62:63], v[219:220], s[46:47]
	v_mul_f64 v[36:37], v[217:218], s[22:23]
	v_fma_f64 v[42:43], v[197:198], s[14:15], -v[42:43]
	v_add_f64 v[148:149], v[148:149], v[152:153]
	v_fma_f64 v[150:151], v[213:214], s[14:15], v[6:7]
	v_add_f64 v[26:27], v[26:27], v[44:45]
	v_mul_f64 v[82:83], v[199:200], s[48:49]
	v_add_f64 v[60:61], v[60:61], v[14:15]
	v_fma_f64 v[14:15], v[183:184], s[16:17], -v[10:11]
	v_add_f64 v[68:69], v[172:173], v[68:69]
	v_fma_f64 v[172:173], v[197:198], s[18:19], v[46:47]
	v_add_f64 v[160:161], v[126:127], v[130:131]
	v_add_f64 v[166:167], v[120:121], v[132:133]
	v_mul_f64 v[249:250], v[193:194], s[54:55]
	v_fma_f64 v[10:11], v[183:184], s[16:17], v[10:11]
	v_mul_f64 v[245:246], v[211:212], s[44:45]
	v_add_f64 v[70:71], v[116:117], v[70:71]
	v_add_f64 v[78:79], v[116:117], v[78:79]
	;; [unrolled: 1-line block ×3, first 2 shown]
	v_dual_mov_b32 v6, v84 :: v_dual_mov_b32 v7, v85
	s_mov_b32 s53, 0xbfe58eea
	s_mov_b32 s52, s44
	v_mul_f64 v[66:67], v[203:204], s[48:49]
	v_fma_f64 v[80:81], v[191:192], s[10:11], -v[225:226]
	v_fma_f64 v[225:226], v[191:192], s[10:11], v[225:226]
	v_add_f64 v[56:57], v[76:77], v[56:57]
	scratch_store_b64 off, v[6:7], off offset:472 ; 8-byte Folded Spill
	v_add_f64 v[20:21], v[12:13], v[20:21]
	v_fma_f64 v[12:13], v[179:180], s[16:17], v[4:5]
	v_fma_f64 v[4:5], v[179:180], s[16:17], -v[4:5]
	v_add_f64 v[241:242], v[241:242], v[251:252]
	v_add_f64 v[54:55], v[247:248], v[54:55]
	v_fma_f64 v[247:248], v[170:171], s[20:21], v[0:1]
	v_fma_f64 v[0:1], v[170:171], s[20:21], -v[0:1]
	v_add_f64 v[74:75], v[28:29], v[74:75]
	v_mul_f64 v[251:252], v[86:87], s[38:39]
	v_fma_f64 v[86:87], v[189:190], s[10:11], v[38:39]
	v_add_f64 v[64:65], v[30:31], v[64:65]
	v_fma_f64 v[30:31], v[189:190], s[16:17], v[40:41]
	v_add_f64 v[32:33], v[32:33], v[72:73]
	v_fma_f64 v[72:73], v[191:192], s[16:17], -v[48:49]
	v_mul_f64 v[28:29], v[195:196], s[54:55]
	v_add_f64 v[22:23], v[22:23], v[26:27]
	v_fma_f64 v[48:49], v[191:192], s[16:17], v[48:49]
	v_add_f64 v[24:25], v[50:51], v[24:25]
	v_add_f64 v[52:53], v[8:9], v[52:53]
	v_fma_f64 v[38:39], v[189:190], s[10:11], -v[38:39]
	v_fma_f64 v[253:254], v[209:210], s[10:11], -v[62:63]
	v_fma_f64 v[62:63], v[209:210], s[10:11], v[62:63]
	v_add_f64 v[34:35], v[42:43], v[34:35]
	v_fma_f64 v[42:43], v[205:206], s[0:1], v[36:37]
	v_add_f64 v[84:85], v[118:119], v[150:151]
	v_mul_f64 v[50:51], v[193:194], s[22:23]
	v_add_f64 v[68:69], v[172:173], v[68:69]
	v_fma_f64 v[172:173], v[189:190], s[20:21], v[82:83]
	v_add_f64 v[148:149], v[144:145], v[148:149]
	v_mul_f64 v[44:45], v[6:7], s[22:23]
	v_mul_f64 v[152:153], v[168:169], s[52:53]
	v_mul_f64 v[150:151], v[6:7], s[38:39]
	v_fma_f64 v[6:7], v[160:161], s[14:15], v[158:159]
	v_fma_f64 v[46:47], v[197:198], s[18:19], -v[46:47]
	v_add_f64 v[58:59], v[80:81], v[58:59]
	v_mul_f64 v[76:77], v[195:196], s[22:23]
	v_mul_f64 v[231:232], v[168:169], s[22:23]
	;; [unrolled: 1-line block ×3, first 2 shown]
	v_fma_f64 v[40:41], v[189:190], s[16:17], -v[40:41]
	v_add_f64 v[12:13], v[12:13], v[20:21]
	v_fma_f64 v[20:21], v[191:192], s[20:21], -v[66:67]
	v_add_f64 v[4:5], v[4:5], v[241:242]
	v_mul_f64 v[26:27], v[181:182], s[54:55]
	v_add_f64 v[162:163], v[124:125], v[128:129]
	v_mul_f64 v[229:230], v[181:182], s[22:23]
	v_add_f64 v[14:15], v[14:15], v[74:75]
	v_fma_f64 v[74:75], v[174:175], s[20:21], -v[2:3]
	v_add_f64 v[54:55], v[86:87], v[54:55]
	v_fma_f64 v[86:87], v[164:165], s[24:25], v[243:244]
	v_add_f64 v[30:31], v[30:31], v[64:65]
	v_fma_f64 v[64:65], v[179:180], s[2:3], v[235:236]
	v_add_f64 v[32:33], v[72:73], v[32:33]
	v_fma_f64 v[72:73], v[183:184], s[2:3], -v[227:228]
	v_add_f64 v[10:11], v[10:11], v[22:23]
	v_fma_f64 v[22:23], v[183:184], s[2:3], v[227:228]
	v_add_f64 v[24:25], v[48:49], v[24:25]
	v_fma_f64 v[48:49], v[179:180], s[14:15], v[249:250]
	v_fma_f64 v[227:228], v[183:184], s[14:15], -v[28:29]
	v_add_f64 v[38:39], v[38:39], v[52:53]
	v_add_f64 v[52:53], v[225:226], v[56:57]
	v_fma_f64 v[56:57], v[166:167], s[24:25], -v[233:234]
	v_add_f64 v[70:71], v[253:254], v[70:71]
	v_fma_f64 v[253:254], v[201:202], s[18:19], -v[245:246]
	v_add_f64 v[78:79], v[62:63], v[78:79]
	v_fma_f64 v[245:246], v[201:202], s[18:19], v[245:246]
	v_add_f64 v[42:43], v[42:43], v[84:85]
	v_fma_f64 v[2:3], v[174:175], s[20:21], v[2:3]
	v_fma_f64 v[84:85], v[179:180], s[2:3], -v[235:236]
	v_fma_f64 v[235:236], v[179:180], s[0:1], v[50:51]
	v_add_f64 v[68:69], v[172:173], v[68:69]
	v_mul_f64 v[62:63], v[207:208], s[40:41]
	v_add_f64 v[46:47], v[46:47], v[60:61]
	v_fma_f64 v[60:61], v[191:192], s[20:21], v[66:67]
	v_fma_f64 v[172:173], v[183:184], s[0:1], -v[76:77]
	v_fma_f64 v[28:29], v[183:184], s[14:15], v[28:29]
	v_fma_f64 v[80:81], v[179:180], s[14:15], -v[249:250]
	v_add_f64 v[34:35], v[40:41], v[34:35]
	v_add_f64 v[12:13], v[247:248], v[12:13]
	v_mul_f64 v[40:41], v[168:169], s[54:55]
	v_add_f64 v[0:1], v[0:1], v[4:5]
	v_add_f64 v[4:5], v[142:143], v[146:147]
	scratch_load_b64 v[146:147], off, off offset:392 ; 8-byte Folded Reload
	v_fma_f64 v[225:226], v[170:171], s[0:1], v[229:230]
	v_add_f64 v[247:248], v[130:131], -v[126:127]
	v_add_f64 v[14:15], v[74:75], v[14:15]
	v_mul_f64 v[8:9], v[199:200], s[26:27]
	v_fma_f64 v[82:83], v[189:190], s[20:21], -v[82:83]
	v_mul_f64 v[144:145], v[193:194], s[48:49]
	v_add_f64 v[30:31], v[64:65], v[30:31]
	v_fma_f64 v[64:65], v[164:165], s[24:25], -v[243:244]
	v_add_f64 v[32:33], v[72:73], v[32:33]
	v_add_f64 v[72:73], v[140:141], v[148:149]
	v_fma_f64 v[142:143], v[170:171], s[0:1], -v[229:230]
	v_add_f64 v[22:23], v[22:23], v[24:25]
	v_add_f64 v[48:49], v[48:49], v[54:55]
	v_fma_f64 v[54:55], v[174:175], s[18:19], -v[152:153]
	v_add_f64 v[58:59], v[227:228], v[58:59]
	v_fma_f64 v[24:25], v[170:171], s[18:19], v[18:19]
	v_fma_f64 v[18:19], v[170:171], s[18:19], -v[18:19]
	v_fma_f64 v[50:51], v[179:180], s[0:1], -v[50:51]
	v_add_f64 v[70:71], v[253:254], v[70:71]
	v_mul_f64 v[140:141], v[181:182], s[28:29]
	v_add_f64 v[66:67], v[245:246], v[78:79]
	v_fma_f64 v[78:79], v[166:167], s[24:25], v[233:234]
	v_add_f64 v[2:3], v[2:3], v[10:11]
	v_fma_f64 v[10:11], v[174:175], s[0:1], v[231:232]
	v_add_f64 v[245:246], v[128:129], -v[124:125]
	v_add_f64 v[68:69], v[235:236], v[68:69]
	v_fma_f64 v[154:155], v[197:198], s[24:25], v[62:63]
	v_fma_f64 v[36:37], v[205:206], s[0:1], -v[36:37]
	v_fma_f64 v[62:63], v[197:198], s[24:25], -v[62:63]
	v_mul_f64 v[148:149], v[211:212], s[48:49]
	v_add_f64 v[28:29], v[28:29], v[52:53]
	v_fma_f64 v[52:53], v[170:171], s[14:15], v[26:27]
	v_add_f64 v[34:35], v[84:85], v[34:35]
	v_add_f64 v[12:13], v[86:87], v[12:13]
	scratch_store_b64 off, v[6:7], off offset:432 ; 8-byte Folded Spill
	v_fma_f64 v[84:85], v[174:175], s[14:15], -v[40:41]
	v_add_f64 v[38:39], v[80:81], v[38:39]
	v_fma_f64 v[80:81], v[174:175], s[18:19], v[152:153]
	v_fma_f64 v[26:27], v[170:171], s[14:15], -v[26:27]
	v_fma_f64 v[40:41], v[174:175], s[14:15], v[40:41]
	v_mul_f64 v[152:153], v[203:204], s[22:23]
	v_fma_f64 v[74:75], v[189:190], s[2:3], v[8:9]
	v_add_f64 v[46:47], v[82:83], v[46:47]
	v_mul_f64 v[82:83], v[211:212], s[36:37]
	v_add_f64 v[30:31], v[225:226], v[30:31]
	v_add_f64 v[235:236], v[64:65], v[0:1]
	;; [unrolled: 1-line block ×4, first 2 shown]
	v_mul_f64 v[136:137], v[16:17], s[50:51]
	v_dual_mov_b32 v4, v16 :: v_dual_mov_b32 v5, v17
	scratch_load_b64 v[16:17], off, off offset:408 ; 8-byte Folded Reload
	v_fma_f64 v[72:73], v[164:165], s[0:1], v[156:157]
	v_add_f64 v[54:55], v[54:55], v[58:59]
	v_fma_f64 v[58:59], v[164:165], s[0:1], -v[156:157]
	v_fma_f64 v[156:157], v[164:165], s[2:3], -v[251:252]
	v_add_f64 v[20:21], v[20:21], v[70:71]
	v_fma_f64 v[70:71], v[174:175], s[0:1], -v[231:232]
	v_add_f64 v[24:25], v[24:25], v[48:49]
	v_mul_f64 v[48:49], v[247:248], s[30:31]
	v_add_f64 v[231:232], v[78:79], v[2:3]
	v_fma_f64 v[2:3], v[166:167], s[18:19], v[239:240]
	v_add_f64 v[10:11], v[10:11], v[22:23]
	v_mul_f64 v[138:139], v[247:248], s[36:37]
	v_add_f64 v[42:43], v[154:155], v[42:43]
	v_mul_f64 v[154:155], v[245:246], s[36:37]
	v_mul_f64 v[22:23], v[245:246], s[30:31]
	v_fma_f64 v[8:9], v[189:190], s[2:3], -v[8:9]
	v_or_b32_e32 v254, 0x160, v255
	v_add_f64 v[52:53], v[52:53], v[68:69]
	v_fma_f64 v[68:69], v[166:167], s[2:3], -v[150:151]
	scratch_store_b64 off, v[12:13], off offset:456 ; 8-byte Folded Spill
	v_add_f64 v[12:13], v[56:57], v[14:15]
	v_add_f64 v[14:15], v[60:61], v[66:67]
	v_fma_f64 v[60:61], v[166:167], s[18:19], -v[239:240]
	v_add_f64 v[18:19], v[18:19], v[38:39]
	v_mul_f64 v[56:57], v[247:248], s[42:43]
	v_fma_f64 v[38:39], v[166:167], s[0:1], v[44:45]
	v_add_f64 v[28:29], v[80:81], v[28:29]
	v_fma_f64 v[66:67], v[179:180], s[20:21], v[144:145]
	v_add_f64 v[34:35], v[142:143], v[34:35]
	v_add_f64 v[46:47], v[50:51], v[46:47]
	v_mul_f64 v[80:81], v[207:208], s[36:37]
	v_fma_f64 v[142:143], v[166:167], s[2:3], v[150:151]
	v_mul_f64 v[150:151], v[203:204], s[26:27]
	v_add_f64 v[50:51], v[132:133], v[64:65]
	v_mul_f64 v[64:65], v[223:224], s[38:39]
	v_mul_f64 v[132:133], v[245:246], s[44:45]
	v_add_f64 v[20:21], v[172:173], v[20:21]
	v_add_f64 v[32:33], v[70:71], v[32:33]
	v_fma_f64 v[70:71], v[164:165], s[18:19], -v[237:238]
	v_add_f64 v[249:250], v[2:3], v[10:11]
	v_mul_f64 v[10:11], v[221:222], s[52:53]
	v_add_f64 v[42:43], v[74:75], v[42:43]
	v_fma_f64 v[74:75], v[166:167], s[0:1], -v[44:45]
	v_mul_f64 v[44:45], v[221:222], s[34:35]
	v_fma_f64 v[243:244], v[160:161], s[20:21], -v[22:23]
	v_fma_f64 v[2:3], v[162:163], s[20:21], -v[48:49]
	scratch_store_b64 off, v[12:13], off offset:464 ; 8-byte Folded Spill
	v_fma_f64 v[12:13], v[183:184], s[0:1], v[76:77]
	v_fma_f64 v[76:77], v[164:165], s[2:3], v[251:252]
	s_clause 0x1
	scratch_load_b64 v[251:252], off, off offset:472
	scratch_load_b64 v[78:79], off, off offset:384
	v_fma_f64 v[229:230], v[162:163], s[24:25], -v[56:57]
	v_add_f64 v[20:21], v[84:85], v[20:21]
	v_mul_f64 v[84:85], v[207:208], s[48:49]
	v_add_f64 v[225:226], v[70:71], v[34:35]
	v_mul_f64 v[34:35], v[221:222], s[38:39]
	v_add_f64 v[42:43], v[66:67], v[42:43]
	v_add_f64 v[241:242], v[74:75], v[54:55]
	v_mul_f64 v[66:67], v[211:212], s[40:41]
	v_add_f64 v[12:13], v[12:13], v[14:15]
	v_mul_f64 v[14:15], v[223:224], s[48:49]
	v_add_f64 v[20:21], v[68:69], v[20:21]
	v_fma_f64 v[172:173], v[197:198], s[20:21], -v[84:85]
	scratch_store_b64 off, v[20:21], off offset:408 ; 8-byte Folded Spill
	v_fma_f64 v[20:21], v[215:216], s[14:15], v[44:45]
	s_delay_alu instid0(VALU_DEP_1)
	v_add_f64 v[20:21], v[116:117], v[20:21]
	s_waitcnt vmcnt(3)
	v_fma_f64 v[6:7], v[162:163], s[14:15], -v[146:147]
	v_fma_f64 v[233:234], v[162:163], s[14:15], v[146:147]
	v_add_f64 v[146:147], v[72:73], v[24:25]
	v_fma_f64 v[24:25], v[160:161], s[16:17], v[154:155]
	s_clause 0x1
	scratch_store_b64 off, v[24:25], off offset:384
	scratch_store_b64 off, v[6:7], off offset:440
	v_fma_f64 v[6:7], v[160:161], s[14:15], -v[158:159]
	v_add_f64 v[24:25], v[76:77], v[52:53]
	v_add_f64 v[158:159], v[26:27], v[46:47]
	v_mul_f64 v[26:27], v[219:220], s[36:37]
	v_mul_f64 v[46:47], v[219:220], s[34:35]
	v_fma_f64 v[52:53], v[215:216], s[18:19], v[10:11]
	v_fma_f64 v[10:11], v[215:216], s[18:19], -v[10:11]
	s_waitcnt vmcnt(2)
	v_fma_f64 v[16:17], v[213:214], s[14:15], -v[16:17]
	scratch_store_b64 off, v[6:7], off offset:448 ; 8-byte Folded Spill
	v_fma_f64 v[6:7], v[164:165], s[18:19], v[237:238]
	scratch_store_b64 off, v[24:25], off offset:392 ; 8-byte Folded Spill
	v_fma_f64 v[24:25], v[162:163], s[16:17], -v[138:139]
	v_fma_f64 v[76:77], v[209:210], s[16:17], v[26:27]
	v_fma_f64 v[26:27], v[209:210], s[16:17], -v[26:27]
	v_add_f64 v[10:11], v[116:117], v[10:11]
	v_add_f64 v[52:53], v[116:117], v[52:53]
	;; [unrolled: 1-line block ×3, first 2 shown]
	s_waitcnt vmcnt(0)
	v_fma_f64 v[237:238], v[160:161], s[24:25], v[78:79]
	v_fma_f64 v[227:228], v[160:161], s[24:25], -v[78:79]
	v_add_f64 v[239:240], v[6:7], v[30:31]
	v_add_f64 v[6:7], v[60:61], v[32:33]
	;; [unrolled: 1-line block ×4, first 2 shown]
	v_fma_f64 v[18:19], v[162:163], s[20:21], v[48:49]
	v_mul_f64 v[30:31], v[223:224], s[52:53]
	v_fma_f64 v[223:224], v[162:163], s[24:25], v[56:57]
	v_mul_f64 v[56:57], v[221:222], s[48:49]
	v_fma_f64 v[60:61], v[170:171], s[10:11], v[140:141]
	v_fma_f64 v[221:222], v[160:161], s[20:21], v[22:23]
	v_fma_f64 v[22:23], v[215:216], s[14:15], -v[44:45]
	v_add_f64 v[134:135], v[40:41], v[12:13]
	v_mul_f64 v[12:13], v[217:218], s[36:37]
	v_add_f64 v[40:41], v[128:129], v[50:51]
	v_mul_f64 v[48:49], v[219:220], s[52:53]
	v_fma_f64 v[44:45], v[213:214], s[2:3], -v[64:65]
	v_fma_f64 v[50:51], v[215:216], s[2:3], v[34:35]
	v_fma_f64 v[64:65], v[213:214], s[2:3], v[64:65]
	v_fma_f64 v[34:35], v[215:216], s[2:3], -v[34:35]
	v_add_f64 v[16:17], v[36:37], v[16:17]
	v_fma_f64 v[36:37], v[201:202], s[24:25], v[66:67]
	v_mul_f64 v[58:59], v[168:169], s[28:29]
	v_fma_f64 v[128:129], v[164:165], s[16:17], v[136:137]
	scratch_store_b64 off, v[24:25], off offset:400 ; 8-byte Folded Spill
	v_fma_f64 v[24:25], v[213:214], s[20:21], -v[14:15]
	v_fma_f64 v[14:15], v[213:214], s[20:21], v[14:15]
	v_add_f64 v[32:33], v[130:131], v[32:33]
	scratch_store_b64 off, v[18:19], off offset:416 ; 8-byte Folded Spill
	v_add_f64 v[18:19], v[38:39], v[28:29]
	v_mul_f64 v[28:29], v[217:218], s[34:35]
	v_fma_f64 v[38:39], v[213:214], s[18:19], -v[30:31]
	v_fma_f64 v[54:55], v[215:216], s[20:21], v[56:57]
	v_fma_f64 v[56:57], v[215:216], s[20:21], -v[56:57]
	v_fma_f64 v[30:31], v[213:214], s[18:19], v[30:31]
	v_add_f64 v[130:131], v[60:61], v[42:43]
	v_mul_f64 v[42:43], v[217:218], s[52:53]
	v_add_f64 v[22:23], v[116:117], v[22:23]
	v_fma_f64 v[74:75], v[205:206], s[16:17], -v[12:13]
	v_add_f64 v[40:41], v[124:125], v[40:41]
	v_fma_f64 v[124:125], v[209:210], s[14:15], v[46:47]
	v_fma_f64 v[12:13], v[205:206], s[16:17], v[12:13]
	v_fma_f64 v[46:47], v[209:210], s[14:15], -v[46:47]
	v_add_f64 v[44:45], v[118:119], v[44:45]
	v_add_f64 v[50:51], v[116:117], v[50:51]
	;; [unrolled: 1-line block ×4, first 2 shown]
	v_mul_f64 v[60:61], v[195:196], s[48:49]
	v_add_f64 v[16:17], v[62:63], v[16:17]
	v_fma_f64 v[62:63], v[191:192], s[2:3], v[150:151]
	v_mul_f64 v[217:218], v[247:248], s[44:45]
	v_add_f64 v[24:25], v[118:119], v[24:25]
	v_add_f64 v[14:15], v[118:119], v[14:15]
	;; [unrolled: 1-line block ×3, first 2 shown]
	v_fma_f64 v[126:127], v[209:210], s[18:19], v[48:49]
	v_fma_f64 v[48:49], v[209:210], s[18:19], -v[48:49]
	scratch_store_b64 off, v[18:19], off offset:424 ; 8-byte Folded Spill
	v_mul_f64 v[18:19], v[219:220], s[22:23]
	v_mul_f64 v[219:220], v[251:252], s[50:51]
	s_mov_b32 s51, 0x3fc7851a
	s_mov_b32 s50, s22
	v_fma_f64 v[78:79], v[205:206], s[14:15], -v[28:29]
	v_mul_f64 v[70:71], v[207:208], s[50:51]
	v_mul_f64 v[72:73], v[211:212], s[50:51]
	v_add_f64 v[56:57], v[116:117], v[56:57]
	v_fma_f64 v[28:29], v[205:206], s[14:15], v[28:29]
	v_add_f64 v[30:31], v[118:119], v[30:31]
	v_add_f64 v[38:39], v[118:119], v[38:39]
	v_fma_f64 v[86:87], v[205:206], s[18:19], -v[42:43]
	v_add_f64 v[54:55], v[116:117], v[54:55]
	v_fma_f64 v[42:43], v[205:206], s[18:19], v[42:43]
	v_fma_f64 v[116:117], v[201:202], s[24:25], -v[66:67]
	v_mul_f64 v[66:67], v[199:200], s[40:41]
	v_add_f64 v[10:11], v[46:47], v[10:11]
	v_add_f64 v[40:41], v[120:121], v[40:41]
	v_fma_f64 v[46:47], v[197:198], s[20:21], v[84:85]
	v_mul_f64 v[84:85], v[195:196], s[46:47]
	v_add_f64 v[8:9], v[8:9], v[16:17]
	v_fma_f64 v[16:17], v[183:184], s[20:21], v[60:61]
	v_add_f64 v[52:53], v[124:125], v[52:53]
	v_mul_f64 v[124:125], v[195:196], s[42:43]
	v_add_f64 v[24:25], v[74:75], v[24:25]
	v_mul_f64 v[74:75], v[199:200], s[22:23]
	v_add_f64 v[12:13], v[12:13], v[14:15]
	v_add_f64 v[32:33], v[122:123], v[32:33]
	v_mul_f64 v[122:123], v[199:200], s[34:35]
	v_fma_f64 v[199:200], v[201:202], s[16:17], v[82:83]
	v_add_f64 v[34:35], v[48:49], v[34:35]
	v_fma_f64 v[68:69], v[209:210], s[0:1], -v[18:19]
	v_fma_f64 v[18:19], v[209:210], s[0:1], v[18:19]
	v_fma_f64 v[48:49], v[191:192], s[2:3], -v[150:151]
	v_add_f64 v[50:51], v[126:127], v[50:51]
	v_fma_f64 v[126:127], v[201:202], s[20:21], v[148:149]
	v_fma_f64 v[118:119], v[197:198], s[0:1], -v[70:71]
	v_fma_f64 v[14:15], v[201:202], s[0:1], -v[72:73]
	v_add_f64 v[26:27], v[26:27], v[56:57]
	v_fma_f64 v[56:57], v[197:198], s[16:17], v[80:81]
	v_add_f64 v[28:29], v[28:29], v[30:31]
	v_fma_f64 v[30:31], v[201:202], s[16:17], -v[82:83]
	v_fma_f64 v[120:121], v[201:202], s[0:1], v[72:73]
	v_add_f64 v[44:45], v[86:87], v[44:45]
	v_mul_f64 v[86:87], v[203:204], s[34:35]
	v_add_f64 v[54:55], v[76:77], v[54:55]
	v_add_f64 v[42:43], v[42:43], v[64:65]
	v_mul_f64 v[72:73], v[195:196], s[44:45]
	v_fma_f64 v[76:77], v[189:190], s[24:25], -v[66:67]
	v_mul_f64 v[82:83], v[193:194], s[46:47]
	v_add_f64 v[38:39], v[78:79], v[38:39]
	v_fma_f64 v[78:79], v[197:198], s[16:17], -v[80:81]
	v_fma_f64 v[64:65], v[201:202], s[20:21], -v[148:149]
	v_add_f64 v[40:41], v[112:113], v[40:41]
	v_add_f64 v[32:33], v[114:115], v[32:33]
	v_fma_f64 v[148:149], v[189:190], s[14:15], -v[122:123]
	v_fma_f64 v[114:115], v[183:184], s[10:11], v[84:85]
	v_add_f64 v[52:53], v[199:200], v[52:53]
	v_add_f64 v[22:23], v[68:69], v[22:23]
	v_mul_f64 v[68:69], v[203:204], s[40:41]
	v_add_f64 v[18:19], v[18:19], v[20:21]
	v_fma_f64 v[20:21], v[197:198], s[0:1], v[70:71]
	v_mul_f64 v[70:71], v[193:194], s[44:45]
	v_add_f64 v[24:25], v[118:119], v[24:25]
	v_mul_f64 v[118:119], v[193:194], s[42:43]
	v_add_f64 v[14:15], v[14:15], v[26:27]
	v_fma_f64 v[26:27], v[189:190], s[0:1], v[74:75]
	v_add_f64 v[28:29], v[56:57], v[28:29]
	v_fma_f64 v[56:57], v[191:192], s[0:1], -v[152:153]
	v_add_f64 v[10:11], v[30:31], v[10:11]
	v_add_f64 v[44:45], v[172:173], v[44:45]
	v_fma_f64 v[150:151], v[191:192], s[14:15], v[86:87]
	v_add_f64 v[54:55], v[120:121], v[54:55]
	v_add_f64 v[42:43], v[46:47], v[42:43]
	v_fma_f64 v[46:47], v[191:192], s[14:15], -v[86:87]
	v_mul_f64 v[86:87], v[168:169], s[40:41]
	v_fma_f64 v[30:31], v[189:190], s[14:15], v[122:123]
	v_mul_f64 v[120:121], v[168:169], s[36:37]
	v_add_f64 v[38:39], v[78:79], v[38:39]
	v_add_f64 v[34:35], v[64:65], v[34:35]
	v_fma_f64 v[64:65], v[183:184], s[20:21], -v[60:61]
	v_fma_f64 v[78:79], v[191:192], s[0:1], v[152:153]
	v_add_f64 v[40:41], v[108:109], v[40:41]
	v_mul_f64 v[60:61], v[181:182], s[38:39]
	v_fma_f64 v[112:113], v[179:180], s[10:11], -v[82:83]
	v_mul_f64 v[108:109], v[4:5], s[28:29]
	v_add_f64 v[50:51], v[126:127], v[50:51]
	v_fma_f64 v[126:127], v[183:184], s[24:25], v[124:125]
	v_add_f64 v[32:33], v[110:111], v[32:33]
	v_mul_f64 v[110:111], v[251:252], s[28:29]
	v_add_f64 v[22:23], v[116:117], v[22:23]
	v_fma_f64 v[80:81], v[191:192], s[24:25], v[68:69]
	v_add_f64 v[18:19], v[36:37], v[18:19]
	v_fma_f64 v[36:37], v[189:190], s[24:25], v[66:67]
	v_add_f64 v[12:13], v[20:21], v[12:13]
	v_fma_f64 v[20:21], v[191:192], s[24:25], -v[68:69]
	v_fma_f64 v[116:117], v[189:190], s[0:1], -v[74:75]
	v_mul_f64 v[66:67], v[168:169], s[38:39]
	v_fma_f64 v[68:69], v[179:180], s[18:19], -v[70:71]
	v_fma_f64 v[74:75], v[183:184], s[18:19], v[72:73]
	v_add_f64 v[24:25], v[76:77], v[24:25]
	v_mul_f64 v[76:77], v[181:182], s[40:41]
	v_add_f64 v[26:27], v[26:27], v[28:29]
	v_fma_f64 v[28:29], v[183:184], s[10:11], -v[84:85]
	v_add_f64 v[10:11], v[56:57], v[10:11]
	v_fma_f64 v[56:57], v[179:180], s[24:25], v[118:119]
	v_fma_f64 v[122:123], v[179:180], s[24:25], -v[118:119]
	v_fma_f64 v[84:85], v[174:175], s[24:25], v[86:87]
	v_add_f64 v[30:31], v[30:31], v[42:43]
	v_fma_f64 v[42:43], v[183:184], s[24:25], -v[124:125]
	v_add_f64 v[44:45], v[148:149], v[44:45]
	v_add_f64 v[34:35], v[46:47], v[34:35]
	v_fma_f64 v[46:47], v[174:175], s[10:11], -v[58:59]
	v_add_f64 v[52:53], v[78:79], v[52:53]
	v_mul_f64 v[78:79], v[4:5], s[30:31]
	v_add_f64 v[40:41], v[104:105], v[40:41]
	v_dual_mov_b32 v104, v247 :: v_dual_mov_b32 v105, v248
	v_fma_f64 v[118:119], v[174:175], s[16:17], v[120:121]
	v_add_f64 v[50:51], v[150:151], v[50:51]
	v_fma_f64 v[124:125], v[162:163], s[18:19], v[217:218]
	v_add_f64 v[32:33], v[106:107], v[32:33]
	v_dual_mov_b32 v106, v245 :: v_dual_mov_b32 v107, v246
	v_add_f64 v[22:23], v[48:49], v[22:23]
	v_fma_f64 v[48:49], v[179:180], s[20:21], -v[144:145]
	v_add_f64 v[18:19], v[62:63], v[18:19]
	v_add_f64 v[54:55], v[80:81], v[54:55]
	v_add_f64 v[12:13], v[36:37], v[12:13]
	v_fma_f64 v[36:37], v[183:184], s[18:19], -v[72:73]
	v_add_f64 v[14:15], v[20:21], v[14:15]
	v_fma_f64 v[20:21], v[179:180], s[10:11], v[82:83]
	v_fma_f64 v[62:63], v[179:180], s[18:19], v[70:71]
	v_mul_f64 v[80:81], v[251:252], s[30:31]
	v_add_f64 v[38:39], v[116:117], v[38:39]
	v_mul_f64 v[116:117], v[181:182], s[36:37]
	v_mul_f64 v[106:107], v[106:107], s[22:23]
	v_fma_f64 v[72:73], v[170:171], s[2:3], -v[60:61]
	v_mul_f64 v[70:71], v[251:252], s[34:35]
	v_add_f64 v[10:11], v[28:29], v[10:11]
	v_add_f64 v[24:25], v[68:69], v[24:25]
	v_fma_f64 v[68:69], v[174:175], s[2:3], v[66:67]
	v_fma_f64 v[82:83], v[170:171], s[24:25], -v[76:77]
	v_add_f64 v[30:31], v[56:57], v[30:31]
	v_fma_f64 v[56:57], v[174:175], s[16:17], -v[120:121]
	v_add_f64 v[34:35], v[42:43], v[34:35]
	;; [unrolled: 2-line block ×4, first 2 shown]
	v_add_f64 v[100:101], v[229:230], v[6:7]
	v_add_f64 v[120:121], v[142:143], v[134:135]
	v_add_f64 v[52:53], v[114:115], v[52:53]
	v_add_f64 v[50:51], v[126:127], v[50:51]
	v_dual_mov_b32 v114, v247 :: v_dual_mov_b32 v115, v248
	v_add_f64 v[32:33], v[102:103], v[32:33]
	v_add_f64 v[102:103], v[237:238], v[239:240]
	s_delay_alu instid0(VALU_DEP_3)
	v_mul_f64 v[114:115], v[114:115], s[22:23]
	v_add_f64 v[22:23], v[64:65], v[22:23]
	v_add_f64 v[8:9], v[48:49], v[8:9]
	v_fma_f64 v[48:49], v[174:175], s[10:11], v[58:59]
	v_add_f64 v[16:17], v[16:17], v[18:19]
	v_fma_f64 v[64:65], v[170:171], s[10:11], -v[140:141]
	v_mul_f64 v[58:59], v[4:5], s[34:35]
	v_add_f64 v[14:15], v[36:37], v[14:15]
	v_fma_f64 v[36:37], v[170:171], s[24:25], v[76:77]
	v_add_f64 v[20:21], v[20:21], v[26:27]
	v_fma_f64 v[26:27], v[174:175], s[24:25], -v[86:87]
	v_add_f64 v[12:13], v[62:63], v[12:13]
	v_fma_f64 v[62:63], v[166:167], s[16:17], v[219:220]
	v_dual_mov_b32 v86, v245 :: v_dual_mov_b32 v87, v246
	v_add_f64 v[54:55], v[74:75], v[54:55]
	v_add_f64 v[38:39], v[112:113], v[38:39]
	v_fma_f64 v[112:113], v[170:171], s[16:17], -v[116:117]
	v_fma_f64 v[18:19], v[170:171], s[2:3], v[60:61]
	v_mul_f64 v[76:77], v[86:87], s[26:27]
	v_fma_f64 v[60:61], v[174:175], s[2:3], -v[66:67]
	v_fma_f64 v[28:29], v[170:171], s[16:17], v[116:117]
	v_mul_f64 v[66:67], v[104:105], s[28:29]
	v_add_f64 v[34:35], v[56:57], v[34:35]
	v_fma_f64 v[56:57], v[160:161], s[16:17], -v[154:155]
	v_fma_f64 v[170:171], v[160:161], s[18:19], v[132:133]
	v_add_f64 v[40:41], v[96:97], v[40:41]
	v_add_f64 v[96:97], v[2:3], v[241:242]
	v_fma_f64 v[116:117], v[162:163], s[16:17], v[138:139]
	v_add_f64 v[52:53], v[84:85], v[52:53]
	v_add_f64 v[50:51], v[118:119], v[50:51]
	;; [unrolled: 1-line block ×3, first 2 shown]
	v_fma_f64 v[72:73], v[166:167], s[14:15], v[70:71]
	v_add_f64 v[174:175], v[128:129], v[130:131]
	v_fma_f64 v[140:141], v[162:163], s[18:19], -v[217:218]
	v_add_f64 v[32:33], v[98:99], v[32:33]
	v_add_f64 v[118:119], v[243:244], v[0:1]
	;; [unrolled: 1-line block ×3, first 2 shown]
	v_or_b32_e32 v244, 0x180, v255
	v_add_f64 v[22:23], v[46:47], v[22:23]
	v_fma_f64 v[46:47], v[164:165], s[16:17], -v[136:137]
	v_fma_f64 v[136:137], v[162:163], s[0:1], v[114:115]
	v_add_f64 v[16:17], v[48:49], v[16:17]
	v_add_f64 v[8:9], v[64:65], v[8:9]
	v_mul_f64 v[64:65], v[86:87], s[28:29]
	v_fma_f64 v[74:75], v[164:165], s[14:15], -v[58:59]
	v_mul_f64 v[86:87], v[104:105], s[26:27]
	v_add_f64 v[20:21], v[36:37], v[20:21]
	v_fma_f64 v[36:37], v[166:167], s[20:21], -v[80:81]
	v_add_f64 v[10:11], v[26:27], v[10:11]
	v_fma_f64 v[104:105], v[164:165], s[20:21], -v[78:79]
	v_fma_f64 v[48:49], v[164:165], s[14:15], v[58:59]
	v_fma_f64 v[58:59], v[164:165], s[20:21], v[78:79]
	v_add_f64 v[54:55], v[68:69], v[54:55]
	v_fma_f64 v[26:27], v[164:165], s[10:11], v[108:109]
	v_fma_f64 v[68:69], v[160:161], s[0:1], -v[106:107]
	v_add_f64 v[38:39], v[82:83], v[38:39]
	v_fma_f64 v[164:165], v[160:161], s[2:3], v[76:77]
	v_add_f64 v[44:45], v[112:113], v[44:45]
	v_fma_f64 v[112:113], v[166:167], s[10:11], v[110:111]
	v_fma_f64 v[82:83], v[166:167], s[20:21], v[80:81]
	v_add_f64 v[12:13], v[18:19], v[12:13]
	v_fma_f64 v[18:19], v[166:167], s[14:15], -v[70:71]
	v_add_f64 v[14:15], v[60:61], v[14:15]
	v_add_f64 v[28:29], v[28:29], v[30:31]
	v_fma_f64 v[30:31], v[166:167], s[10:11], -v[110:111]
	v_add_f64 v[120:121], v[116:117], v[120:121]
	v_fma_f64 v[128:129], v[162:163], s[10:11], v[66:67]
	v_add_f64 v[60:61], v[156:157], v[158:159]
	v_fma_f64 v[156:157], v[162:163], s[0:1], -v[114:115]
	v_add_f64 v[0:1], v[185:186], v[40:41]
	v_add_f64 v[114:115], v[227:228], v[225:226]
	;; [unrolled: 1-line block ×5, first 2 shown]
	v_or_b32_e32 v243, 0x1a0, v255
	v_add_f64 v[179:180], v[42:43], v[22:23]
	v_fma_f64 v[22:23], v[160:161], s[18:19], -v[132:133]
	v_add_f64 v[189:190], v[62:63], v[16:17]
	v_add_f64 v[8:9], v[46:47], v[8:9]
	v_fma_f64 v[42:43], v[160:161], s[10:11], -v[64:65]
	v_fma_f64 v[46:47], v[160:161], s[2:3], -v[76:77]
	v_fma_f64 v[181:182], v[160:161], s[10:11], v[64:65]
	v_fma_f64 v[160:161], v[160:161], s[0:1], v[106:107]
	;; [unrolled: 1-line block ×3, first 2 shown]
	v_add_f64 v[172:173], v[36:37], v[10:11]
	s_clause 0x1
	scratch_load_b64 v[10:11], off, off offset:432
	scratch_load_b64 v[16:17], off, off offset:456
	v_add_f64 v[24:25], v[74:75], v[24:25]
	v_add_f64 v[166:167], v[58:59], v[20:21]
	;; [unrolled: 1-line block ×3, first 2 shown]
	v_fma_f64 v[168:169], v[162:163], s[2:3], -v[86:87]
	v_add_f64 v[38:39], v[104:105], v[38:39]
	v_add_f64 v[44:45], v[122:123], v[44:45]
	;; [unrolled: 1-line block ×5, first 2 shown]
	v_fma_f64 v[12:13], v[162:163], s[10:11], -v[66:67]
	v_add_f64 v[14:15], v[18:19], v[14:15]
	v_add_f64 v[154:155], v[26:27], v[28:29]
	;; [unrolled: 1-line block ×4, first 2 shown]
	v_lshlrev_b32_e32 v250, 4, v255
	v_add_f64 v[122:123], v[56:57], v[60:61]
	v_or_b32_e32 v249, 0xe0, v255
	v_add_f64 v[146:147], v[140:141], v[179:180]
	v_add_f64 v[124:125], v[124:125], v[189:190]
	;; [unrolled: 1-line block ×15, first 2 shown]
	s_waitcnt vmcnt(0)
	v_add_f64 v[106:107], v[10:11], v[16:17]
	s_clause 0x3
	scratch_load_b64 v[10:11], off, off offset:440
	scratch_load_b64 v[4:5], off, off offset:464
	;; [unrolled: 1-line block ×3, first 2 shown]
	scratch_load_b32 v242, off, off offset:376
	s_waitcnt vmcnt(2)
	v_add_f64 v[104:105], v[10:11], v[4:5]
	s_clause 0x2
	scratch_load_b64 v[10:11], off, off offset:448
	scratch_load_b64 v[4:5], off, off offset:416
	;; [unrolled: 1-line block ×3, first 2 shown]
	s_waitcnt vmcnt(2)
	v_add_f64 v[110:111], v[10:11], v[235:236]
	s_waitcnt vmcnt(0)
	v_add_f64 v[116:117], v[4:5], v[6:7]
	s_clause 0x1
	scratch_load_b64 v[4:5], off, off offset:384
	scratch_load_b64 v[6:7], off, off offset:392
	s_waitcnt vmcnt(0)
	v_add_f64 v[144:145], v[4:5], v[6:7]
	s_clause 0x1
	scratch_load_b64 v[4:5], off, off offset:400
	scratch_load_b64 v[6:7], off, off offset:408
	s_waitcnt vmcnt(0)
	v_add_f64 v[142:143], v[4:5], v[6:7]
	scratch_load_b32 v5, off, off offset:380 ; 4-byte Folded Reload
	v_mul_lo_u16 v4, v255, 17
	s_delay_alu instid0(VALU_DEP_1) | instskip(SKIP_1) | instid1(VALU_DEP_1)
	v_and_b32_e32 v4, 0xffff, v4
	s_waitcnt vmcnt(0)
	v_lshl_add_u32 v4, v4, 4, v5
	ds_store_b128 v4, v[0:3]
	ds_store_b128 v4, v[136:139] offset:16
	ds_store_b128 v4, v[132:135] offset:32
	;; [unrolled: 1-line block ×16, first 2 shown]
.LBB0_13:
	s_or_b32 exec_lo, exec_lo, s33
	s_waitcnt lgkmcnt(0)
	s_waitcnt_vscnt null, 0x0
	s_barrier
	buffer_gl0_inv
	ds_load_b128 v[0:3], v178 offset:4352
	ds_load_b128 v[96:99], v178 offset:4896
	;; [unrolled: 1-line block ×8, first 2 shown]
	s_clause 0x7
	scratch_load_b128 v[38:41], off, off offset:16
	scratch_load_b128 v[42:45], off, off
	scratch_load_b128 v[46:49], off, off offset:64
	scratch_load_b128 v[50:53], off, off offset:80
	;; [unrolled: 1-line block ×6, first 2 shown]
	s_mov_b32 s0, 0x667f3bcd
	s_mov_b32 s1, 0xbfe6a09e
	;; [unrolled: 1-line block ×12, first 2 shown]
	s_waitcnt vmcnt(7) lgkmcnt(7)
	v_mul_f64 v[4:5], v[40:41], v[2:3]
	v_mul_f64 v[6:7], v[40:41], v[0:1]
	s_waitcnt vmcnt(6) lgkmcnt(6)
	v_mul_f64 v[8:9], v[44:45], v[98:99]
	v_mul_f64 v[10:11], v[44:45], v[96:97]
	;; [unrolled: 3-line block ×8, first 2 shown]
	v_fma_f64 v[36:37], v[38:39], v[0:1], v[4:5]
	v_fma_f64 v[38:39], v[38:39], v[2:3], -v[6:7]
	v_fma_f64 v[40:41], v[42:43], v[96:97], v[8:9]
	v_fma_f64 v[42:43], v[42:43], v[98:99], -v[10:11]
	;; [unrolled: 2-line block ×7, first 2 shown]
	ds_load_b128 v[0:3], v178
	ds_load_b128 v[4:7], v178 offset:544
	ds_load_b128 v[8:11], v178 offset:1088
	;; [unrolled: 1-line block ×7, first 2 shown]
	v_fma_f64 v[64:65], v[66:67], v[120:121], v[32:33]
	s_waitcnt lgkmcnt(0)
	s_barrier
	buffer_gl0_inv
	v_fma_f64 v[66:67], v[66:67], v[122:123], -v[34:35]
	v_add_f64 v[32:33], v[0:1], -v[36:37]
	scratch_load_b32 v36, off, off offset:344 ; 4-byte Folded Reload
	v_add_f64 v[34:35], v[2:3], -v[38:39]
	v_add_f64 v[96:97], v[4:5], -v[40:41]
	;; [unrolled: 1-line block ×15, first 2 shown]
	v_fma_f64 v[0:1], v[0:1], 2.0, -v[32:33]
	v_fma_f64 v[2:3], v[2:3], 2.0, -v[34:35]
	;; [unrolled: 1-line block ×15, first 2 shown]
	s_waitcnt vmcnt(0)
	ds_store_b128 v36, v[0:3]
	ds_store_b128 v36, v[32:35] offset:272
	scratch_load_b32 v0, off, off offset:364 ; 4-byte Folded Reload
	v_fma_f64 v[30:31], v[30:31], 2.0, -v[122:123]
	s_waitcnt vmcnt(0)
	ds_store_b128 v0, v[4:7]
	ds_store_b128 v0, v[96:99] offset:272
	scratch_load_b32 v0, off, off offset:356 ; 4-byte Folded Reload
	s_waitcnt vmcnt(0)
	ds_store_b128 v0, v[8:11]
	ds_store_b128 v0, v[100:103] offset:272
	scratch_load_b32 v0, off, off offset:352 ; 4-byte Folded Reload
	;; [unrolled: 4-line block ×5, first 2 shown]
	s_waitcnt vmcnt(0)
	ds_store_b128 v0, v[24:27]
	ds_store_b128 v0, v[116:119] offset:272
	ds_store_b128 v176, v[28:31]
	ds_store_b128 v176, v[120:123] offset:272
	s_waitcnt lgkmcnt(0)
	s_barrier
	buffer_gl0_inv
	ds_load_b128 v[0:3], v178 offset:544
	ds_load_b128 v[4:7], v178 offset:1088
	;; [unrolled: 1-line block ×15, first 2 shown]
	s_clause 0x7
	scratch_load_b128 v[150:153], off, off offset:240
	scratch_load_b128 v[146:149], off, off offset:224
	;; [unrolled: 1-line block ×8, first 2 shown]
	s_waitcnt lgkmcnt(2)
	v_mul_f64 v[84:85], v[94:95], v[110:111]
	v_mul_f64 v[86:87], v[94:95], v[108:109]
	;; [unrolled: 1-line block ×4, first 2 shown]
	s_waitcnt vmcnt(7)
	v_mul_f64 v[52:53], v[152:153], v[18:19]
	v_mul_f64 v[54:55], v[152:153], v[16:17]
	scratch_load_b128 v[152:155], off, off offset:256 ; 16-byte Folded Reload
	s_waitcnt vmcnt(6)
	v_mul_f64 v[36:37], v[138:139], v[2:3]
	v_mul_f64 v[38:39], v[138:139], v[0:1]
	scratch_load_b128 v[138:141], off, off offset:192 ; 16-byte Folded Reload
	s_waitcnt vmcnt(6)
	v_mul_f64 v[40:41], v[134:135], v[6:7]
	v_mul_f64 v[42:43], v[134:135], v[4:5]
	s_waitcnt vmcnt(5)
	v_mul_f64 v[44:45], v[130:131], v[10:11]
	v_mul_f64 v[46:47], v[130:131], v[8:9]
	;; [unrolled: 3-line block ×3, first 2 shown]
	v_mul_f64 v[56:57], v[148:149], v[22:23]
	v_mul_f64 v[58:59], v[148:149], v[20:21]
	s_waitcnt vmcnt(3)
	v_mul_f64 v[60:61], v[144:145], v[26:27]
	v_mul_f64 v[62:63], v[144:145], v[24:25]
	s_waitcnt vmcnt(2) lgkmcnt(1)
	v_mul_f64 v[76:77], v[164:165], v[114:115]
	v_mul_f64 v[78:79], v[164:165], v[112:113]
	v_fma_f64 v[16:17], v[150:151], v[16:17], v[52:53]
	v_fma_f64 v[18:19], v[150:151], v[18:19], -v[54:55]
	v_fma_f64 v[52:53], v[92:93], v[108:109], v[84:85]
	v_fma_f64 v[36:37], v[136:137], v[0:1], v[36:37]
	v_fma_f64 v[38:39], v[136:137], v[2:3], -v[38:39]
	v_fma_f64 v[54:55], v[92:93], v[110:111], -v[86:87]
	v_fma_f64 v[4:5], v[132:133], v[4:5], v[40:41]
	v_fma_f64 v[6:7], v[132:133], v[6:7], -v[42:43]
	v_fma_f64 v[8:9], v[128:129], v[8:9], v[44:45]
	;; [unrolled: 2-line block ×6, first 2 shown]
	v_fma_f64 v[58:59], v[88:89], v[102:103], -v[90:91]
	ds_load_b128 v[0:3], v178
	v_fma_f64 v[48:49], v[162:163], v[112:113], v[76:77]
	v_fma_f64 v[50:51], v[162:163], v[114:115], -v[78:79]
	v_add_f64 v[52:53], v[16:17], -v[52:53]
	v_add_f64 v[54:55], v[18:19], -v[54:55]
	;; [unrolled: 1-line block ×6, first 2 shown]
	v_fma_f64 v[16:17], v[16:17], 2.0, -v[52:53]
	v_fma_f64 v[18:19], v[18:19], 2.0, -v[54:55]
	;; [unrolled: 1-line block ×6, first 2 shown]
	s_waitcnt vmcnt(1)
	v_mul_f64 v[68:69], v[154:155], v[106:107]
	v_mul_f64 v[70:71], v[154:155], v[104:105]
	scratch_load_b128 v[154:157], off, off offset:272 ; 16-byte Folded Reload
	s_waitcnt vmcnt(1)
	v_mul_f64 v[64:65], v[140:141], v[30:31]
	v_mul_f64 v[66:67], v[140:141], v[28:29]
	v_fma_f64 v[40:41], v[152:153], v[104:105], v[68:69]
	v_fma_f64 v[42:43], v[152:153], v[106:107], -v[70:71]
	s_delay_alu instid0(VALU_DEP_4) | instskip(NEXT) | instid1(VALU_DEP_4)
	v_fma_f64 v[28:29], v[138:139], v[28:29], v[64:65]
	v_fma_f64 v[30:31], v[138:139], v[30:31], -v[66:67]
	s_delay_alu instid0(VALU_DEP_4) | instskip(NEXT) | instid1(VALU_DEP_4)
	v_add_f64 v[40:41], v[12:13], -v[40:41]
	v_add_f64 v[42:43], v[14:15], -v[42:43]
	s_waitcnt lgkmcnt(0)
	s_delay_alu instid0(VALU_DEP_4) | instskip(NEXT) | instid1(VALU_DEP_4)
	v_add_f64 v[28:29], v[0:1], -v[28:29]
	v_add_f64 v[30:31], v[2:3], -v[30:31]
	s_delay_alu instid0(VALU_DEP_4) | instskip(NEXT) | instid1(VALU_DEP_4)
	v_fma_f64 v[12:13], v[12:13], 2.0, -v[40:41]
	v_fma_f64 v[14:15], v[14:15], 2.0, -v[42:43]
	s_delay_alu instid0(VALU_DEP_4) | instskip(NEXT) | instid1(VALU_DEP_4)
	v_add_f64 v[64:65], v[28:29], v[42:43]
	v_add_f64 v[66:67], v[30:31], -v[40:41]
	v_fma_f64 v[0:1], v[0:1], 2.0, -v[28:29]
	v_fma_f64 v[2:3], v[2:3], 2.0, -v[30:31]
	s_delay_alu instid0(VALU_DEP_4) | instskip(NEXT) | instid1(VALU_DEP_4)
	v_fma_f64 v[28:29], v[28:29], 2.0, -v[64:65]
	v_fma_f64 v[30:31], v[30:31], 2.0, -v[66:67]
	s_delay_alu instid0(VALU_DEP_4) | instskip(NEXT) | instid1(VALU_DEP_4)
	v_add_f64 v[12:13], v[0:1], -v[12:13]
	v_add_f64 v[14:15], v[2:3], -v[14:15]
	s_delay_alu instid0(VALU_DEP_2) | instskip(NEXT) | instid1(VALU_DEP_2)
	v_fma_f64 v[0:1], v[0:1], 2.0, -v[12:13]
	v_fma_f64 v[2:3], v[2:3], 2.0, -v[14:15]
	s_waitcnt vmcnt(0)
	v_mul_f64 v[72:73], v[156:157], v[98:99]
	v_mul_f64 v[74:75], v[156:157], v[96:97]
	scratch_load_b128 v[156:159], off, off offset:288 ; 16-byte Folded Reload
	v_fma_f64 v[44:45], v[154:155], v[96:97], v[72:73]
	v_fma_f64 v[46:47], v[154:155], v[98:99], -v[74:75]
	s_delay_alu instid0(VALU_DEP_2) | instskip(NEXT) | instid1(VALU_DEP_2)
	v_add_f64 v[44:45], v[4:5], -v[44:45]
	v_add_f64 v[46:47], v[6:7], -v[46:47]
	s_delay_alu instid0(VALU_DEP_2) | instskip(NEXT) | instid1(VALU_DEP_2)
	v_add_f64 v[68:69], v[44:45], v[50:51]
	v_add_f64 v[70:71], v[46:47], -v[48:49]
	v_fma_f64 v[4:5], v[4:5], 2.0, -v[44:45]
	v_fma_f64 v[6:7], v[6:7], 2.0, -v[46:47]
	s_delay_alu instid0(VALU_DEP_4) | instskip(NEXT) | instid1(VALU_DEP_4)
	v_fma_f64 v[40:41], v[44:45], 2.0, -v[68:69]
	v_fma_f64 v[42:43], v[46:47], 2.0, -v[70:71]
	s_delay_alu instid0(VALU_DEP_4) | instskip(NEXT) | instid1(VALU_DEP_4)
	v_add_f64 v[20:21], v[4:5], -v[20:21]
	v_add_f64 v[22:23], v[6:7], -v[22:23]
	v_fma_f64 v[48:49], v[68:69], s[2:3], v[64:65]
	v_fma_f64 v[50:51], v[70:71], s[2:3], v[66:67]
	s_delay_alu instid0(VALU_DEP_4) | instskip(NEXT) | instid1(VALU_DEP_4)
	v_fma_f64 v[4:5], v[4:5], 2.0, -v[20:21]
	v_fma_f64 v[6:7], v[6:7], 2.0, -v[22:23]
	s_delay_alu instid0(VALU_DEP_4) | instskip(NEXT) | instid1(VALU_DEP_4)
	v_fma_f64 v[70:71], v[70:71], s[2:3], v[48:49]
	v_fma_f64 v[68:69], v[68:69], s[0:1], v[50:51]
	s_waitcnt vmcnt(0)
	v_mul_f64 v[80:81], v[158:159], v[34:35]
	v_mul_f64 v[82:83], v[158:159], v[32:33]
	scratch_load_b128 v[158:161], off, off offset:304 ; 16-byte Folded Reload
	v_fma_f64 v[32:33], v[156:157], v[32:33], v[80:81]
	v_fma_f64 v[34:35], v[156:157], v[34:35], -v[82:83]
	s_delay_alu instid0(VALU_DEP_2) | instskip(NEXT) | instid1(VALU_DEP_2)
	v_add_f64 v[32:33], v[36:37], -v[32:33]
	v_add_f64 v[34:35], v[38:39], -v[34:35]
	s_delay_alu instid0(VALU_DEP_2) | instskip(NEXT) | instid1(VALU_DEP_2)
	v_add_f64 v[72:73], v[32:33], v[54:55]
	v_add_f64 v[74:75], v[34:35], -v[52:53]
	v_fma_f64 v[36:37], v[36:37], 2.0, -v[32:33]
	v_fma_f64 v[38:39], v[38:39], 2.0, -v[34:35]
	s_delay_alu instid0(VALU_DEP_4) | instskip(NEXT) | instid1(VALU_DEP_4)
	v_fma_f64 v[32:33], v[32:33], 2.0, -v[72:73]
	v_fma_f64 v[34:35], v[34:35], 2.0, -v[74:75]
	s_delay_alu instid0(VALU_DEP_4) | instskip(NEXT) | instid1(VALU_DEP_4)
	v_add_f64 v[16:17], v[36:37], -v[16:17]
	v_add_f64 v[18:19], v[38:39], -v[18:19]
	s_delay_alu instid0(VALU_DEP_2) | instskip(NEXT) | instid1(VALU_DEP_2)
	v_fma_f64 v[36:37], v[36:37], 2.0, -v[16:17]
	v_fma_f64 v[38:39], v[38:39], 2.0, -v[18:19]
	s_waitcnt vmcnt(0)
	v_mul_f64 v[120:121], v[160:161], v[116:117]
	v_mul_f64 v[122:123], v[160:161], v[118:119]
	s_delay_alu instid0(VALU_DEP_2) | instskip(NEXT) | instid1(VALU_DEP_2)
	v_fma_f64 v[60:61], v[158:159], v[118:119], -v[120:121]
	v_fma_f64 v[62:63], v[158:159], v[116:117], v[122:123]
	s_delay_alu instid0(VALU_DEP_2) | instskip(NEXT) | instid1(VALU_DEP_2)
	v_add_f64 v[60:61], v[26:27], -v[60:61]
	v_add_f64 v[62:63], v[24:25], -v[62:63]
	s_delay_alu instid0(VALU_DEP_2) | instskip(NEXT) | instid1(VALU_DEP_2)
	v_add_f64 v[76:77], v[56:57], v[60:61]
	v_add_f64 v[78:79], v[58:59], -v[62:63]
	v_fma_f64 v[24:25], v[24:25], 2.0, -v[62:63]
	v_fma_f64 v[26:27], v[26:27], 2.0, -v[60:61]
	s_delay_alu instid0(VALU_DEP_4) | instskip(NEXT) | instid1(VALU_DEP_4)
	v_fma_f64 v[44:45], v[56:57], 2.0, -v[76:77]
	v_fma_f64 v[46:47], v[58:59], 2.0, -v[78:79]
	s_delay_alu instid0(VALU_DEP_4) | instskip(NEXT) | instid1(VALU_DEP_4)
	v_add_f64 v[24:25], v[8:9], -v[24:25]
	v_add_f64 v[26:27], v[10:11], -v[26:27]
	v_fma_f64 v[52:53], v[76:77], s[2:3], v[72:73]
	v_fma_f64 v[54:55], v[78:79], s[2:3], v[74:75]
	;; [unrolled: 1-line block ×6, first 2 shown]
	v_fma_f64 v[8:9], v[8:9], 2.0, -v[24:25]
	v_fma_f64 v[10:11], v[10:11], 2.0, -v[26:27]
	v_fma_f64 v[48:49], v[78:79], s[2:3], v[52:53]
	v_fma_f64 v[50:51], v[76:77], s[0:1], v[54:55]
	v_add_f64 v[52:53], v[12:13], v[22:23]
	v_add_f64 v[54:55], v[14:15], -v[20:21]
	v_add_f64 v[20:21], v[16:17], v[26:27]
	v_fma_f64 v[56:57], v[42:43], s[2:3], v[56:57]
	v_fma_f64 v[58:59], v[40:41], s[0:1], v[58:59]
	v_add_f64 v[24:25], v[18:19], -v[24:25]
	v_add_f64 v[40:41], v[0:1], -v[4:5]
	;; [unrolled: 1-line block ×3, first 2 shown]
	v_fma_f64 v[22:23], v[46:47], s[2:3], v[60:61]
	v_fma_f64 v[26:27], v[44:45], s[0:1], v[62:63]
	v_fma_f64 v[44:45], v[64:65], 2.0, -v[70:71]
	v_add_f64 v[4:5], v[36:37], -v[8:9]
	v_fma_f64 v[60:61], v[72:73], 2.0, -v[48:49]
	v_fma_f64 v[46:47], v[66:67], 2.0, -v[68:69]
	;; [unrolled: 1-line block ×3, first 2 shown]
	v_add_f64 v[6:7], v[38:39], -v[10:11]
	v_fma_f64 v[72:73], v[16:17], 2.0, -v[20:21]
	v_fma_f64 v[62:63], v[74:75], 2.0, -v[50:51]
	;; [unrolled: 1-line block ×4, first 2 shown]
	v_fma_f64 v[8:9], v[20:21], s[2:3], v[52:53]
	v_fma_f64 v[78:79], v[0:1], 2.0, -v[40:41]
	v_fma_f64 v[66:67], v[14:15], 2.0, -v[54:55]
	v_fma_f64 v[10:11], v[24:25], s[2:3], v[54:55]
	v_fma_f64 v[80:81], v[2:3], 2.0, -v[42:43]
	v_fma_f64 v[82:83], v[50:51], s[18:19], v[68:69]
	v_fma_f64 v[30:31], v[32:33], 2.0, -v[22:23]
	v_fma_f64 v[28:29], v[34:35], 2.0, -v[26:27]
	;; [unrolled: 1-line block ×4, first 2 shown]
	v_fma_f64 v[16:17], v[60:61], s[16:17], v[44:45]
	v_fma_f64 v[34:35], v[22:23], s[14:15], v[56:57]
	v_fma_f64 v[36:37], v[26:27], s[14:15], v[58:59]
	v_fma_f64 v[14:15], v[38:39], 2.0, -v[6:7]
	v_fma_f64 v[84:85], v[72:73], s[0:1], v[64:65]
	v_fma_f64 v[18:19], v[62:63], s[16:17], v[46:47]
	v_add_f64 v[2:3], v[42:43], -v[4:5]
	v_fma_f64 v[38:39], v[48:49], s[18:19], v[70:71]
	v_fma_f64 v[4:5], v[24:25], s[2:3], v[8:9]
	v_add_f64 v[0:1], v[40:41], v[6:7]
	v_fma_f64 v[6:7], v[20:21], s[0:1], v[10:11]
	v_fma_f64 v[86:87], v[30:31], s[10:11], v[74:75]
	;; [unrolled: 1-line block ×4, first 2 shown]
	v_add_f64 v[8:9], v[78:79], -v[12:13]
	v_fma_f64 v[12:13], v[62:63], s[18:19], v[16:17]
	v_fma_f64 v[16:17], v[26:27], s[18:19], v[34:35]
	v_add_f64 v[10:11], v[80:81], -v[14:15]
	v_fma_f64 v[24:25], v[32:33], s[2:3], v[84:85]
	v_fma_f64 v[14:15], v[60:61], s[10:11], v[18:19]
	;; [unrolled: 1-line block ×5, first 2 shown]
	v_fma_f64 v[32:33], v[40:41], 2.0, -v[0:1]
	v_fma_f64 v[34:35], v[42:43], 2.0, -v[2:3]
	;; [unrolled: 1-line block ×4, first 2 shown]
	v_fma_f64 v[28:29], v[28:29], s[14:15], v[86:87]
	v_fma_f64 v[30:31], v[30:31], s[16:17], v[88:89]
	;; [unrolled: 1-line block ×3, first 2 shown]
	v_fma_f64 v[40:41], v[78:79], 2.0, -v[8:9]
	v_fma_f64 v[44:45], v[44:45], 2.0, -v[12:13]
	v_fma_f64 v[48:49], v[56:57], 2.0, -v[16:17]
	v_fma_f64 v[42:43], v[80:81], 2.0, -v[10:11]
	v_fma_f64 v[56:57], v[64:65], 2.0, -v[24:25]
	scratch_load_b32 v64, off, off offset:360 ; 4-byte Folded Reload
	v_fma_f64 v[46:47], v[46:47], 2.0, -v[14:15]
	v_fma_f64 v[50:51], v[58:59], 2.0, -v[18:19]
	;; [unrolled: 1-line block ×7, first 2 shown]
	s_waitcnt vmcnt(0)
	ds_store_b128 v64, v[40:43]
	ds_store_b128 v177, v[44:47] offset:1632
	ds_store_b128 v177, v[32:35] offset:2176
	;; [unrolled: 1-line block ×15, first 2 shown]
	s_waitcnt lgkmcnt(0)
	s_barrier
	buffer_gl0_inv
	s_and_b32 exec_lo, exec_lo, vcc_lo
	s_cbranch_execz .LBB0_15
; %bb.14:
	global_load_b128 v[0:3], v250, s[8:9]
	ds_load_b128 v[4:7], v242
	s_mov_b32 s0, 0x1e1e1e1e
	s_mov_b32 s1, 0x3f5e1e1e
	v_or_b32_e32 v16, 32, v255
	s_waitcnt vmcnt(0) lgkmcnt(0)
	v_mul_f64 v[8:9], v[6:7], v[2:3]
	v_mul_f64 v[2:3], v[4:5], v[2:3]
	s_delay_alu instid0(VALU_DEP_2) | instskip(NEXT) | instid1(VALU_DEP_2)
	v_fma_f64 v[4:5], v[4:5], v[0:1], v[8:9]
	v_fma_f64 v[0:1], v[0:1], v[6:7], -v[2:3]
	v_mad_u64_u32 v[6:7], null, s6, v241, 0
	v_mad_u64_u32 v[8:9], null, s4, v255, 0
	s_delay_alu instid0(VALU_DEP_4) | instskip(NEXT) | instid1(VALU_DEP_4)
	v_mul_f64 v[2:3], v[4:5], s[0:1]
	v_mul_f64 v[4:5], v[0:1], s[0:1]
	s_delay_alu instid0(VALU_DEP_3) | instskip(NEXT) | instid1(VALU_DEP_1)
	v_dual_mov_b32 v0, v7 :: v_dual_mov_b32 v1, v9
	v_mad_u64_u32 v[9:10], null, s7, v241, v[0:1]
	s_delay_alu instid0(VALU_DEP_1) | instskip(SKIP_1) | instid1(VALU_DEP_2)
	v_mov_b32_e32 v7, v9
	v_mad_u64_u32 v[10:11], null, s5, v255, v[1:2]
	v_lshlrev_b64 v[0:1], 4, v[6:7]
	s_delay_alu instid0(VALU_DEP_1) | instskip(NEXT) | instid1(VALU_DEP_3)
	v_add_co_u32 v0, vcc_lo, s12, v0
	v_mov_b32_e32 v9, v10
	s_delay_alu instid0(VALU_DEP_3) | instskip(NEXT) | instid1(VALU_DEP_2)
	v_add_co_ci_u32_e32 v1, vcc_lo, s13, v1, vcc_lo
	v_lshlrev_b64 v[6:7], 4, v[8:9]
	s_delay_alu instid0(VALU_DEP_1) | instskip(NEXT) | instid1(VALU_DEP_2)
	v_add_co_u32 v6, vcc_lo, v0, v6
	v_add_co_ci_u32_e32 v7, vcc_lo, v1, v7, vcc_lo
	global_store_b128 v[6:7], v[2:5], off
	global_load_b128 v[2:5], v250, s[8:9] offset:512
	ds_load_b128 v[6:9], v177 offset:512
	ds_load_b128 v[10:13], v177 offset:1024
	s_waitcnt vmcnt(0) lgkmcnt(1)
	v_mul_f64 v[14:15], v[8:9], v[4:5]
	v_mul_f64 v[4:5], v[6:7], v[4:5]
	s_delay_alu instid0(VALU_DEP_2) | instskip(NEXT) | instid1(VALU_DEP_2)
	v_fma_f64 v[6:7], v[6:7], v[2:3], v[14:15]
	v_fma_f64 v[4:5], v[2:3], v[8:9], -v[4:5]
	v_mad_u64_u32 v[8:9], null, s4, v16, 0
	s_delay_alu instid0(VALU_DEP_3) | instskip(NEXT) | instid1(VALU_DEP_3)
	v_mul_f64 v[2:3], v[6:7], s[0:1]
	v_mul_f64 v[4:5], v[4:5], s[0:1]
	s_delay_alu instid0(VALU_DEP_3) | instskip(NEXT) | instid1(VALU_DEP_1)
	v_mov_b32_e32 v6, v9
	v_mad_u64_u32 v[14:15], null, s5, v16, v[6:7]
	v_or_b32_e32 v16, 0x60, v255
	s_delay_alu instid0(VALU_DEP_2) | instskip(NEXT) | instid1(VALU_DEP_1)
	v_mov_b32_e32 v9, v14
	v_lshlrev_b64 v[6:7], 4, v[8:9]
	s_delay_alu instid0(VALU_DEP_1) | instskip(NEXT) | instid1(VALU_DEP_2)
	v_add_co_u32 v6, vcc_lo, v0, v6
	v_add_co_ci_u32_e32 v7, vcc_lo, v1, v7, vcc_lo
	global_store_b128 v[6:7], v[2:5], off
	global_load_b128 v[2:5], v250, s[8:9] offset:1024
	s_waitcnt vmcnt(0) lgkmcnt(0)
	v_mul_f64 v[6:7], v[12:13], v[4:5]
	v_mul_f64 v[4:5], v[10:11], v[4:5]
	s_delay_alu instid0(VALU_DEP_2) | instskip(NEXT) | instid1(VALU_DEP_2)
	v_fma_f64 v[6:7], v[10:11], v[2:3], v[6:7]
	v_fma_f64 v[4:5], v[2:3], v[12:13], -v[4:5]
	v_or_b32_e32 v11, 64, v255
	s_delay_alu instid0(VALU_DEP_1) | instskip(NEXT) | instid1(VALU_DEP_4)
	v_mad_u64_u32 v[8:9], null, s4, v11, 0
	v_mul_f64 v[2:3], v[6:7], s[0:1]
	s_delay_alu instid0(VALU_DEP_4) | instskip(NEXT) | instid1(VALU_DEP_3)
	v_mul_f64 v[4:5], v[4:5], s[0:1]
	v_mov_b32_e32 v6, v9
	s_delay_alu instid0(VALU_DEP_1) | instskip(NEXT) | instid1(VALU_DEP_1)
	v_mad_u64_u32 v[9:10], null, s5, v11, v[6:7]
	v_lshlrev_b64 v[6:7], 4, v[8:9]
	s_delay_alu instid0(VALU_DEP_1) | instskip(NEXT) | instid1(VALU_DEP_2)
	v_add_co_u32 v6, vcc_lo, v0, v6
	v_add_co_ci_u32_e32 v7, vcc_lo, v1, v7, vcc_lo
	global_store_b128 v[6:7], v[2:5], off
	global_load_b128 v[2:5], v250, s[8:9] offset:1536
	ds_load_b128 v[6:9], v177 offset:1536
	ds_load_b128 v[10:13], v177 offset:2048
	s_waitcnt vmcnt(0) lgkmcnt(1)
	v_mul_f64 v[14:15], v[8:9], v[4:5]
	v_mul_f64 v[4:5], v[6:7], v[4:5]
	s_delay_alu instid0(VALU_DEP_2) | instskip(NEXT) | instid1(VALU_DEP_2)
	v_fma_f64 v[6:7], v[6:7], v[2:3], v[14:15]
	v_fma_f64 v[4:5], v[2:3], v[8:9], -v[4:5]
	v_mad_u64_u32 v[8:9], null, s4, v16, 0
	s_delay_alu instid0(VALU_DEP_3) | instskip(NEXT) | instid1(VALU_DEP_3)
	v_mul_f64 v[2:3], v[6:7], s[0:1]
	v_mul_f64 v[4:5], v[4:5], s[0:1]
	s_delay_alu instid0(VALU_DEP_3) | instskip(NEXT) | instid1(VALU_DEP_1)
	v_mov_b32_e32 v6, v9
	v_mad_u64_u32 v[14:15], null, s5, v16, v[6:7]
	v_or_b32_e32 v16, 0xa0, v255
	s_delay_alu instid0(VALU_DEP_2) | instskip(NEXT) | instid1(VALU_DEP_1)
	v_mov_b32_e32 v9, v14
	v_lshlrev_b64 v[6:7], 4, v[8:9]
	s_delay_alu instid0(VALU_DEP_1) | instskip(NEXT) | instid1(VALU_DEP_2)
	v_add_co_u32 v6, vcc_lo, v0, v6
	v_add_co_ci_u32_e32 v7, vcc_lo, v1, v7, vcc_lo
	global_store_b128 v[6:7], v[2:5], off
	global_load_b128 v[2:5], v250, s[8:9] offset:2048
	s_waitcnt vmcnt(0) lgkmcnt(0)
	v_mul_f64 v[6:7], v[12:13], v[4:5]
	v_mul_f64 v[4:5], v[10:11], v[4:5]
	s_delay_alu instid0(VALU_DEP_2) | instskip(NEXT) | instid1(VALU_DEP_2)
	v_fma_f64 v[6:7], v[10:11], v[2:3], v[6:7]
	v_fma_f64 v[4:5], v[2:3], v[12:13], -v[4:5]
	v_or_b32_e32 v11, 0x80, v255
	s_delay_alu instid0(VALU_DEP_1) | instskip(NEXT) | instid1(VALU_DEP_4)
	v_mad_u64_u32 v[8:9], null, s4, v11, 0
	v_mul_f64 v[2:3], v[6:7], s[0:1]
	s_delay_alu instid0(VALU_DEP_4) | instskip(NEXT) | instid1(VALU_DEP_3)
	v_mul_f64 v[4:5], v[4:5], s[0:1]
	v_mov_b32_e32 v6, v9
	s_delay_alu instid0(VALU_DEP_1) | instskip(NEXT) | instid1(VALU_DEP_1)
	v_mad_u64_u32 v[9:10], null, s5, v11, v[6:7]
	;; [unrolled: 45-line block ×3, first 2 shown]
	v_lshlrev_b64 v[6:7], 4, v[8:9]
	s_delay_alu instid0(VALU_DEP_1) | instskip(NEXT) | instid1(VALU_DEP_2)
	v_add_co_u32 v6, vcc_lo, v0, v6
	v_add_co_ci_u32_e32 v7, vcc_lo, v1, v7, vcc_lo
	global_store_b128 v[6:7], v[2:5], off
	global_load_b128 v[2:5], v250, s[8:9] offset:3584
	ds_load_b128 v[6:9], v177 offset:3584
	ds_load_b128 v[10:13], v177 offset:4096
	s_waitcnt vmcnt(0) lgkmcnt(1)
	v_mul_f64 v[14:15], v[8:9], v[4:5]
	v_mul_f64 v[4:5], v[6:7], v[4:5]
	s_delay_alu instid0(VALU_DEP_2) | instskip(NEXT) | instid1(VALU_DEP_2)
	v_fma_f64 v[6:7], v[6:7], v[2:3], v[14:15]
	v_fma_f64 v[4:5], v[2:3], v[8:9], -v[4:5]
	v_mad_u64_u32 v[8:9], null, s4, v249, 0
	s_delay_alu instid0(VALU_DEP_3) | instskip(NEXT) | instid1(VALU_DEP_3)
	v_mul_f64 v[2:3], v[6:7], s[0:1]
	v_mul_f64 v[4:5], v[4:5], s[0:1]
	s_delay_alu instid0(VALU_DEP_3) | instskip(NEXT) | instid1(VALU_DEP_1)
	v_mov_b32_e32 v6, v9
	v_mad_u64_u32 v[14:15], null, s5, v249, v[6:7]
	s_delay_alu instid0(VALU_DEP_1) | instskip(SKIP_1) | instid1(VALU_DEP_2)
	v_mov_b32_e32 v9, v14
	v_or_b32_e32 v14, 0x100, v255
	v_lshlrev_b64 v[6:7], 4, v[8:9]
	s_delay_alu instid0(VALU_DEP_2) | instskip(NEXT) | instid1(VALU_DEP_2)
	v_lshlrev_b32_e32 v8, 4, v14
	v_add_co_u32 v6, vcc_lo, v0, v6
	s_delay_alu instid0(VALU_DEP_3)
	v_add_co_ci_u32_e32 v7, vcc_lo, v1, v7, vcc_lo
	global_store_b128 v[6:7], v[2:5], off
	global_load_b128 v[2:5], v8, s[8:9]
	v_mad_u64_u32 v[8:9], null, s4, v14, 0
	s_waitcnt vmcnt(0) lgkmcnt(0)
	v_mul_f64 v[6:7], v[12:13], v[4:5]
	v_mul_f64 v[4:5], v[10:11], v[4:5]
	s_delay_alu instid0(VALU_DEP_2) | instskip(NEXT) | instid1(VALU_DEP_2)
	v_fma_f64 v[6:7], v[10:11], v[2:3], v[6:7]
	v_fma_f64 v[4:5], v[2:3], v[12:13], -v[4:5]
	s_delay_alu instid0(VALU_DEP_2) | instskip(NEXT) | instid1(VALU_DEP_2)
	v_mul_f64 v[2:3], v[6:7], s[0:1]
	v_mul_f64 v[4:5], v[4:5], s[0:1]
	v_mov_b32_e32 v6, v9
	s_delay_alu instid0(VALU_DEP_1) | instskip(NEXT) | instid1(VALU_DEP_1)
	v_mad_u64_u32 v[9:10], null, s5, v14, v[6:7]
	v_lshlrev_b64 v[6:7], 4, v[8:9]
	v_lshlrev_b32_e32 v8, 4, v16
	s_delay_alu instid0(VALU_DEP_2) | instskip(NEXT) | instid1(VALU_DEP_3)
	v_add_co_u32 v6, vcc_lo, v0, v6
	v_add_co_ci_u32_e32 v7, vcc_lo, v1, v7, vcc_lo
	global_store_b128 v[6:7], v[2:5], off
	global_load_b128 v[2:5], v8, s[8:9]
	ds_load_b128 v[6:9], v177 offset:4608
	ds_load_b128 v[10:13], v177 offset:5120
	s_waitcnt vmcnt(0) lgkmcnt(1)
	v_mul_f64 v[14:15], v[8:9], v[4:5]
	v_mul_f64 v[4:5], v[6:7], v[4:5]
	s_delay_alu instid0(VALU_DEP_2) | instskip(NEXT) | instid1(VALU_DEP_2)
	v_fma_f64 v[6:7], v[6:7], v[2:3], v[14:15]
	v_fma_f64 v[4:5], v[2:3], v[8:9], -v[4:5]
	v_mad_u64_u32 v[8:9], null, s4, v16, 0
	s_delay_alu instid0(VALU_DEP_3) | instskip(NEXT) | instid1(VALU_DEP_3)
	v_mul_f64 v[2:3], v[6:7], s[0:1]
	v_mul_f64 v[4:5], v[4:5], s[0:1]
	s_delay_alu instid0(VALU_DEP_3) | instskip(NEXT) | instid1(VALU_DEP_1)
	v_mov_b32_e32 v6, v9
	v_mad_u64_u32 v[14:15], null, s5, v16, v[6:7]
	v_or_b32_e32 v16, 0x1e0, v255
	s_delay_alu instid0(VALU_DEP_2) | instskip(SKIP_1) | instid1(VALU_DEP_2)
	v_mov_b32_e32 v9, v14
	v_or_b32_e32 v14, 0x140, v255
	v_lshlrev_b64 v[6:7], 4, v[8:9]
	s_delay_alu instid0(VALU_DEP_2) | instskip(NEXT) | instid1(VALU_DEP_2)
	v_lshlrev_b32_e32 v8, 4, v14
	v_add_co_u32 v6, vcc_lo, v0, v6
	s_delay_alu instid0(VALU_DEP_3)
	v_add_co_ci_u32_e32 v7, vcc_lo, v1, v7, vcc_lo
	global_store_b128 v[6:7], v[2:5], off
	global_load_b128 v[2:5], v8, s[8:9]
	v_mad_u64_u32 v[8:9], null, s4, v14, 0
	s_waitcnt vmcnt(0) lgkmcnt(0)
	v_mul_f64 v[6:7], v[12:13], v[4:5]
	v_mul_f64 v[4:5], v[10:11], v[4:5]
	s_delay_alu instid0(VALU_DEP_2) | instskip(NEXT) | instid1(VALU_DEP_2)
	v_fma_f64 v[6:7], v[10:11], v[2:3], v[6:7]
	v_fma_f64 v[4:5], v[2:3], v[12:13], -v[4:5]
	s_delay_alu instid0(VALU_DEP_2) | instskip(NEXT) | instid1(VALU_DEP_2)
	v_mul_f64 v[2:3], v[6:7], s[0:1]
	v_mul_f64 v[4:5], v[4:5], s[0:1]
	v_mov_b32_e32 v6, v9
	s_delay_alu instid0(VALU_DEP_1) | instskip(NEXT) | instid1(VALU_DEP_1)
	v_mad_u64_u32 v[9:10], null, s5, v14, v[6:7]
	v_lshlrev_b64 v[6:7], 4, v[8:9]
	v_lshlrev_b32_e32 v8, 4, v254
	s_delay_alu instid0(VALU_DEP_2) | instskip(NEXT) | instid1(VALU_DEP_3)
	v_add_co_u32 v6, vcc_lo, v0, v6
	v_add_co_ci_u32_e32 v7, vcc_lo, v1, v7, vcc_lo
	global_store_b128 v[6:7], v[2:5], off
	global_load_b128 v[2:5], v8, s[8:9]
	ds_load_b128 v[6:9], v177 offset:5632
	ds_load_b128 v[10:13], v177 offset:6144
	s_waitcnt vmcnt(0) lgkmcnt(1)
	v_mul_f64 v[14:15], v[8:9], v[4:5]
	v_mul_f64 v[4:5], v[6:7], v[4:5]
	s_delay_alu instid0(VALU_DEP_2) | instskip(NEXT) | instid1(VALU_DEP_2)
	v_fma_f64 v[6:7], v[6:7], v[2:3], v[14:15]
	v_fma_f64 v[4:5], v[2:3], v[8:9], -v[4:5]
	v_mad_u64_u32 v[8:9], null, s4, v254, 0
	s_delay_alu instid0(VALU_DEP_3) | instskip(NEXT) | instid1(VALU_DEP_3)
	v_mul_f64 v[2:3], v[6:7], s[0:1]
	v_mul_f64 v[4:5], v[4:5], s[0:1]
	s_delay_alu instid0(VALU_DEP_3) | instskip(NEXT) | instid1(VALU_DEP_1)
	v_mov_b32_e32 v6, v9
	v_mad_u64_u32 v[14:15], null, s5, v254, v[6:7]
	s_delay_alu instid0(VALU_DEP_1) | instskip(NEXT) | instid1(VALU_DEP_1)
	v_mov_b32_e32 v9, v14
	v_lshlrev_b64 v[6:7], 4, v[8:9]
	v_lshlrev_b32_e32 v8, 4, v244
	s_delay_alu instid0(VALU_DEP_2) | instskip(NEXT) | instid1(VALU_DEP_3)
	v_add_co_u32 v6, vcc_lo, v0, v6
	v_add_co_ci_u32_e32 v7, vcc_lo, v1, v7, vcc_lo
	global_store_b128 v[6:7], v[2:5], off
	global_load_b128 v[2:5], v8, s[8:9]
	v_mad_u64_u32 v[8:9], null, s4, v244, 0
	s_waitcnt vmcnt(0) lgkmcnt(0)
	v_mul_f64 v[6:7], v[12:13], v[4:5]
	v_mul_f64 v[4:5], v[10:11], v[4:5]
	s_delay_alu instid0(VALU_DEP_2) | instskip(NEXT) | instid1(VALU_DEP_2)
	v_fma_f64 v[6:7], v[10:11], v[2:3], v[6:7]
	v_fma_f64 v[4:5], v[2:3], v[12:13], -v[4:5]
	s_delay_alu instid0(VALU_DEP_2) | instskip(NEXT) | instid1(VALU_DEP_2)
	v_mul_f64 v[2:3], v[6:7], s[0:1]
	v_mul_f64 v[4:5], v[4:5], s[0:1]
	v_mov_b32_e32 v6, v9
	s_delay_alu instid0(VALU_DEP_1) | instskip(NEXT) | instid1(VALU_DEP_1)
	v_mad_u64_u32 v[9:10], null, s5, v244, v[6:7]
	v_lshlrev_b64 v[6:7], 4, v[8:9]
	v_lshlrev_b32_e32 v8, 4, v243
	s_delay_alu instid0(VALU_DEP_2) | instskip(NEXT) | instid1(VALU_DEP_3)
	v_add_co_u32 v6, vcc_lo, v0, v6
	v_add_co_ci_u32_e32 v7, vcc_lo, v1, v7, vcc_lo
	global_store_b128 v[6:7], v[2:5], off
	global_load_b128 v[2:5], v8, s[8:9]
	ds_load_b128 v[6:9], v177 offset:6656
	ds_load_b128 v[10:13], v177 offset:7168
	s_waitcnt vmcnt(0) lgkmcnt(1)
	v_mul_f64 v[14:15], v[8:9], v[4:5]
	v_mul_f64 v[4:5], v[6:7], v[4:5]
	s_delay_alu instid0(VALU_DEP_2) | instskip(NEXT) | instid1(VALU_DEP_2)
	v_fma_f64 v[6:7], v[6:7], v[2:3], v[14:15]
	v_fma_f64 v[4:5], v[2:3], v[8:9], -v[4:5]
	v_mad_u64_u32 v[8:9], null, s4, v243, 0
	s_delay_alu instid0(VALU_DEP_3) | instskip(NEXT) | instid1(VALU_DEP_3)
	v_mul_f64 v[2:3], v[6:7], s[0:1]
	v_mul_f64 v[4:5], v[4:5], s[0:1]
	s_delay_alu instid0(VALU_DEP_3) | instskip(NEXT) | instid1(VALU_DEP_1)
	v_mov_b32_e32 v6, v9
	v_mad_u64_u32 v[14:15], null, s5, v243, v[6:7]
	s_delay_alu instid0(VALU_DEP_1) | instskip(SKIP_1) | instid1(VALU_DEP_2)
	v_mov_b32_e32 v9, v14
	v_or_b32_e32 v14, 0x1c0, v255
	v_lshlrev_b64 v[6:7], 4, v[8:9]
	s_delay_alu instid0(VALU_DEP_2) | instskip(NEXT) | instid1(VALU_DEP_2)
	v_lshlrev_b32_e32 v8, 4, v14
	v_add_co_u32 v6, vcc_lo, v0, v6
	s_delay_alu instid0(VALU_DEP_3)
	v_add_co_ci_u32_e32 v7, vcc_lo, v1, v7, vcc_lo
	global_store_b128 v[6:7], v[2:5], off
	global_load_b128 v[2:5], v8, s[8:9]
	v_mad_u64_u32 v[8:9], null, s4, v14, 0
	s_waitcnt vmcnt(0) lgkmcnt(0)
	v_mul_f64 v[6:7], v[12:13], v[4:5]
	v_mul_f64 v[4:5], v[10:11], v[4:5]
	s_delay_alu instid0(VALU_DEP_2) | instskip(NEXT) | instid1(VALU_DEP_2)
	v_fma_f64 v[6:7], v[10:11], v[2:3], v[6:7]
	v_fma_f64 v[4:5], v[2:3], v[12:13], -v[4:5]
	s_delay_alu instid0(VALU_DEP_2) | instskip(NEXT) | instid1(VALU_DEP_2)
	v_mul_f64 v[2:3], v[6:7], s[0:1]
	v_mul_f64 v[4:5], v[4:5], s[0:1]
	v_mov_b32_e32 v6, v9
	s_delay_alu instid0(VALU_DEP_1) | instskip(NEXT) | instid1(VALU_DEP_1)
	v_mad_u64_u32 v[9:10], null, s5, v14, v[6:7]
	v_lshlrev_b64 v[6:7], 4, v[8:9]
	v_lshlrev_b32_e32 v8, 4, v16
	s_delay_alu instid0(VALU_DEP_2) | instskip(NEXT) | instid1(VALU_DEP_3)
	v_add_co_u32 v6, vcc_lo, v0, v6
	v_add_co_ci_u32_e32 v7, vcc_lo, v1, v7, vcc_lo
	global_store_b128 v[6:7], v[2:5], off
	global_load_b128 v[2:5], v8, s[8:9]
	ds_load_b128 v[6:9], v177 offset:7680
	ds_load_b128 v[10:13], v177 offset:8192
	s_waitcnt vmcnt(0) lgkmcnt(1)
	v_mul_f64 v[14:15], v[8:9], v[4:5]
	v_mul_f64 v[4:5], v[6:7], v[4:5]
	s_delay_alu instid0(VALU_DEP_2) | instskip(NEXT) | instid1(VALU_DEP_2)
	v_fma_f64 v[6:7], v[6:7], v[2:3], v[14:15]
	v_fma_f64 v[4:5], v[2:3], v[8:9], -v[4:5]
	v_mad_u64_u32 v[8:9], null, s4, v16, 0
	s_delay_alu instid0(VALU_DEP_3) | instskip(NEXT) | instid1(VALU_DEP_3)
	v_mul_f64 v[2:3], v[6:7], s[0:1]
	v_mul_f64 v[4:5], v[4:5], s[0:1]
	s_delay_alu instid0(VALU_DEP_3) | instskip(NEXT) | instid1(VALU_DEP_1)
	v_mov_b32_e32 v6, v9
	v_mad_u64_u32 v[14:15], null, s5, v16, v[6:7]
	s_delay_alu instid0(VALU_DEP_1) | instskip(SKIP_1) | instid1(VALU_DEP_2)
	v_mov_b32_e32 v9, v14
	v_or_b32_e32 v14, 0x200, v255
	v_lshlrev_b64 v[6:7], 4, v[8:9]
	s_delay_alu instid0(VALU_DEP_2) | instskip(NEXT) | instid1(VALU_DEP_2)
	v_lshlrev_b32_e32 v8, 4, v14
	v_add_co_u32 v6, vcc_lo, v0, v6
	s_delay_alu instid0(VALU_DEP_3)
	v_add_co_ci_u32_e32 v7, vcc_lo, v1, v7, vcc_lo
	global_store_b128 v[6:7], v[2:5], off
	global_load_b128 v[2:5], v8, s[8:9]
	v_mad_u64_u32 v[8:9], null, s4, v14, 0
	s_waitcnt vmcnt(0) lgkmcnt(0)
	v_mul_f64 v[6:7], v[12:13], v[4:5]
	v_mul_f64 v[4:5], v[10:11], v[4:5]
	s_delay_alu instid0(VALU_DEP_2) | instskip(NEXT) | instid1(VALU_DEP_2)
	v_fma_f64 v[6:7], v[10:11], v[2:3], v[6:7]
	v_fma_f64 v[4:5], v[2:3], v[12:13], -v[4:5]
	s_delay_alu instid0(VALU_DEP_2) | instskip(NEXT) | instid1(VALU_DEP_2)
	v_mul_f64 v[2:3], v[6:7], s[0:1]
	v_mul_f64 v[4:5], v[4:5], s[0:1]
	v_mov_b32_e32 v6, v9
                                        ; kill: def $vgpr7 killed $sgpr0 killed $exec
	s_delay_alu instid0(VALU_DEP_1) | instskip(NEXT) | instid1(VALU_DEP_1)
	v_mad_u64_u32 v[9:10], null, s5, v14, v[6:7]
	v_lshlrev_b64 v[6:7], 4, v[8:9]
	s_delay_alu instid0(VALU_DEP_1) | instskip(NEXT) | instid1(VALU_DEP_2)
	v_add_co_u32 v0, vcc_lo, v0, v6
	v_add_co_ci_u32_e32 v1, vcc_lo, v1, v7, vcc_lo
	global_store_b128 v[0:1], v[2:5], off
.LBB0_15:
	s_nop 0
	s_sendmsg sendmsg(MSG_DEALLOC_VGPRS)
	s_endpgm
	.section	.rodata,"a",@progbits
	.p2align	6, 0x0
	.amdhsa_kernel bluestein_single_back_len544_dim1_dp_op_CI_CI
		.amdhsa_group_segment_fixed_size 26112
		.amdhsa_private_segment_fixed_size 484
		.amdhsa_kernarg_size 104
		.amdhsa_user_sgpr_count 15
		.amdhsa_user_sgpr_dispatch_ptr 0
		.amdhsa_user_sgpr_queue_ptr 0
		.amdhsa_user_sgpr_kernarg_segment_ptr 1
		.amdhsa_user_sgpr_dispatch_id 0
		.amdhsa_user_sgpr_private_segment_size 0
		.amdhsa_wavefront_size32 1
		.amdhsa_uses_dynamic_stack 0
		.amdhsa_enable_private_segment 1
		.amdhsa_system_sgpr_workgroup_id_x 1
		.amdhsa_system_sgpr_workgroup_id_y 0
		.amdhsa_system_sgpr_workgroup_id_z 0
		.amdhsa_system_sgpr_workgroup_info 0
		.amdhsa_system_vgpr_workitem_id 0
		.amdhsa_next_free_vgpr 256
		.amdhsa_next_free_sgpr 58
		.amdhsa_reserve_vcc 1
		.amdhsa_float_round_mode_32 0
		.amdhsa_float_round_mode_16_64 0
		.amdhsa_float_denorm_mode_32 3
		.amdhsa_float_denorm_mode_16_64 3
		.amdhsa_dx10_clamp 1
		.amdhsa_ieee_mode 1
		.amdhsa_fp16_overflow 0
		.amdhsa_workgroup_processor_mode 1
		.amdhsa_memory_ordered 1
		.amdhsa_forward_progress 0
		.amdhsa_shared_vgpr_count 0
		.amdhsa_exception_fp_ieee_invalid_op 0
		.amdhsa_exception_fp_denorm_src 0
		.amdhsa_exception_fp_ieee_div_zero 0
		.amdhsa_exception_fp_ieee_overflow 0
		.amdhsa_exception_fp_ieee_underflow 0
		.amdhsa_exception_fp_ieee_inexact 0
		.amdhsa_exception_int_div_zero 0
	.end_amdhsa_kernel
	.text
.Lfunc_end0:
	.size	bluestein_single_back_len544_dim1_dp_op_CI_CI, .Lfunc_end0-bluestein_single_back_len544_dim1_dp_op_CI_CI
                                        ; -- End function
	.section	.AMDGPU.csdata,"",@progbits
; Kernel info:
; codeLenInByte = 27300
; NumSgprs: 60
; NumVgprs: 256
; ScratchSize: 484
; MemoryBound: 0
; FloatMode: 240
; IeeeMode: 1
; LDSByteSize: 26112 bytes/workgroup (compile time only)
; SGPRBlocks: 7
; VGPRBlocks: 31
; NumSGPRsForWavesPerEU: 60
; NumVGPRsForWavesPerEU: 256
; Occupancy: 5
; WaveLimiterHint : 1
; COMPUTE_PGM_RSRC2:SCRATCH_EN: 1
; COMPUTE_PGM_RSRC2:USER_SGPR: 15
; COMPUTE_PGM_RSRC2:TRAP_HANDLER: 0
; COMPUTE_PGM_RSRC2:TGID_X_EN: 1
; COMPUTE_PGM_RSRC2:TGID_Y_EN: 0
; COMPUTE_PGM_RSRC2:TGID_Z_EN: 0
; COMPUTE_PGM_RSRC2:TIDIG_COMP_CNT: 0
	.text
	.p2alignl 7, 3214868480
	.fill 96, 4, 3214868480
	.type	__hip_cuid_45f9d1a321fc8597,@object ; @__hip_cuid_45f9d1a321fc8597
	.section	.bss,"aw",@nobits
	.globl	__hip_cuid_45f9d1a321fc8597
__hip_cuid_45f9d1a321fc8597:
	.byte	0                               ; 0x0
	.size	__hip_cuid_45f9d1a321fc8597, 1

	.ident	"AMD clang version 19.0.0git (https://github.com/RadeonOpenCompute/llvm-project roc-6.4.0 25133 c7fe45cf4b819c5991fe208aaa96edf142730f1d)"
	.section	".note.GNU-stack","",@progbits
	.addrsig
	.addrsig_sym __hip_cuid_45f9d1a321fc8597
	.amdgpu_metadata
---
amdhsa.kernels:
  - .args:
      - .actual_access:  read_only
        .address_space:  global
        .offset:         0
        .size:           8
        .value_kind:     global_buffer
      - .actual_access:  read_only
        .address_space:  global
        .offset:         8
        .size:           8
        .value_kind:     global_buffer
      - .actual_access:  read_only
        .address_space:  global
        .offset:         16
        .size:           8
        .value_kind:     global_buffer
      - .actual_access:  read_only
        .address_space:  global
        .offset:         24
        .size:           8
        .value_kind:     global_buffer
      - .actual_access:  read_only
        .address_space:  global
        .offset:         32
        .size:           8
        .value_kind:     global_buffer
      - .offset:         40
        .size:           8
        .value_kind:     by_value
      - .address_space:  global
        .offset:         48
        .size:           8
        .value_kind:     global_buffer
      - .address_space:  global
        .offset:         56
        .size:           8
        .value_kind:     global_buffer
      - .address_space:  global
        .offset:         64
        .size:           8
        .value_kind:     global_buffer
      - .address_space:  global
        .offset:         72
        .size:           8
        .value_kind:     global_buffer
      - .offset:         80
        .size:           4
        .value_kind:     by_value
      - .address_space:  global
        .offset:         88
        .size:           8
        .value_kind:     global_buffer
      - .address_space:  global
        .offset:         96
        .size:           8
        .value_kind:     global_buffer
    .group_segment_fixed_size: 26112
    .kernarg_segment_align: 8
    .kernarg_segment_size: 104
    .language:       OpenCL C
    .language_version:
      - 2
      - 0
    .max_flat_workgroup_size: 102
    .name:           bluestein_single_back_len544_dim1_dp_op_CI_CI
    .private_segment_fixed_size: 484
    .sgpr_count:     60
    .sgpr_spill_count: 0
    .symbol:         bluestein_single_back_len544_dim1_dp_op_CI_CI.kd
    .uniform_work_group_size: 1
    .uses_dynamic_stack: false
    .vgpr_count:     256
    .vgpr_spill_count: 126
    .wavefront_size: 32
    .workgroup_processor_mode: 1
amdhsa.target:   amdgcn-amd-amdhsa--gfx1100
amdhsa.version:
  - 1
  - 2
...

	.end_amdgpu_metadata
